;; amdgpu-corpus repo=ROCm/rocFFT kind=compiled arch=gfx950 opt=O3
	.text
	.amdgcn_target "amdgcn-amd-amdhsa--gfx950"
	.amdhsa_code_object_version 6
	.protected	fft_rtc_fwd_len192_factors_4_4_2_2_3_wgs_252_tpt_12_dim3_sp_ip_CI_sbcc_twdbase8_3step_dirReg ; -- Begin function fft_rtc_fwd_len192_factors_4_4_2_2_3_wgs_252_tpt_12_dim3_sp_ip_CI_sbcc_twdbase8_3step_dirReg
	.globl	fft_rtc_fwd_len192_factors_4_4_2_2_3_wgs_252_tpt_12_dim3_sp_ip_CI_sbcc_twdbase8_3step_dirReg
	.p2align	8
	.type	fft_rtc_fwd_len192_factors_4_4_2_2_3_wgs_252_tpt_12_dim3_sp_ip_CI_sbcc_twdbase8_3step_dirReg,@function
fft_rtc_fwd_len192_factors_4_4_2_2_3_wgs_252_tpt_12_dim3_sp_ip_CI_sbcc_twdbase8_3step_dirReg: ; @fft_rtc_fwd_len192_factors_4_4_2_2_3_wgs_252_tpt_12_dim3_sp_ip_CI_sbcc_twdbase8_3step_dirReg
; %bb.0:
	s_load_dwordx4 s[4:7], s[0:1], 0x10
	s_mov_b32 s3, 0
	s_mov_b64 s[20:21], 0
	s_waitcnt lgkmcnt(0)
	s_load_dwordx2 s[10:11], s[4:5], 0x8
	s_waitcnt lgkmcnt(0)
	s_add_u32 s8, s10, -1
	s_addc_u32 s9, s11, -1
	s_add_u32 s12, 0, 0x30c26c00
	s_addc_u32 s13, 0, 44
	s_mul_hi_u32 s15, s12, 0xffffffeb
	s_add_i32 s13, s13, 0xc30c2e0
	s_sub_i32 s15, s15, s12
	s_mul_i32 s18, s13, 0xffffffeb
	s_mul_i32 s14, s12, 0xffffffeb
	s_add_i32 s15, s15, s18
	s_mul_hi_u32 s16, s13, s14
	s_mul_i32 s17, s13, s14
	s_mul_i32 s19, s12, s15
	s_mul_hi_u32 s14, s12, s14
	s_mul_hi_u32 s18, s12, s15
	s_add_u32 s14, s14, s19
	s_addc_u32 s18, 0, s18
	s_add_u32 s14, s14, s17
	s_mul_hi_u32 s19, s13, s15
	s_addc_u32 s14, s18, s16
	s_addc_u32 s16, s19, 0
	s_mul_i32 s15, s13, s15
	s_add_u32 s14, s14, s15
	v_mov_b32_e32 v1, s14
	s_addc_u32 s15, 0, s16
	v_add_co_u32_e32 v1, vcc, s12, v1
	s_cmp_lg_u64 vcc, 0
	s_addc_u32 s12, s13, s15
	v_readfirstlane_b32 s15, v1
	s_mul_i32 s14, s8, s12
	s_mul_hi_u32 s16, s8, s15
	s_mul_hi_u32 s13, s8, s12
	s_add_u32 s14, s16, s14
	s_addc_u32 s13, 0, s13
	s_mul_hi_u32 s17, s9, s15
	s_mul_i32 s15, s9, s15
	s_add_u32 s14, s14, s15
	s_mul_hi_u32 s16, s9, s12
	s_addc_u32 s13, s13, s17
	s_addc_u32 s14, s16, 0
	s_mul_i32 s12, s9, s12
	s_add_u32 s12, s13, s12
	s_addc_u32 s13, 0, s14
	s_add_u32 s14, s12, 1
	s_addc_u32 s15, s13, 0
	s_add_u32 s16, s12, 2
	s_mul_i32 s18, s13, 21
	s_mul_hi_u32 s19, s12, 21
	s_addc_u32 s17, s13, 0
	s_add_i32 s19, s19, s18
	s_mul_i32 s18, s12, 21
	v_mov_b32_e32 v1, s18
	v_sub_co_u32_e32 v1, vcc, s8, v1
	s_cmp_lg_u64 vcc, 0
	s_subb_u32 s8, s9, s19
	v_subrev_co_u32_e32 v2, vcc, 21, v1
	s_cmp_lg_u64 vcc, 0
	s_subb_u32 s9, s8, 0
	v_readfirstlane_b32 s18, v2
	s_cmp_gt_u32 s18, 20
	s_cselect_b32 s18, -1, 0
	s_cmp_eq_u32 s9, 0
	s_cselect_b32 s9, s18, -1
	s_cmp_lg_u32 s9, 0
	s_cselect_b32 s9, s16, s14
	s_cselect_b32 s14, s17, s15
	v_readfirstlane_b32 s15, v1
	s_cmp_gt_u32 s15, 20
	s_cselect_b32 s15, -1, 0
	s_cmp_eq_u32 s8, 0
	s_cselect_b32 s8, s15, -1
	s_cmp_lg_u32 s8, 0
	s_cselect_b32 s9, s9, s12
	s_cselect_b32 s8, s14, s13
	s_add_u32 s18, s9, 1
	s_addc_u32 s19, s8, 0
	v_mov_b64_e32 v[2:3], s[18:19]
	v_cmp_lt_u64_e32 vcc, s[2:3], v[2:3]
	s_cbranch_vccnz .LBB0_2
; %bb.1:
	v_cvt_f32_u32_e32 v1, s18
	s_sub_i32 s8, 0, s18
	s_mov_b32 s21, s3
	v_rcp_iflag_f32_e32 v1, v1
	s_nop 0
	v_mul_f32_e32 v1, 0x4f7ffffe, v1
	v_cvt_u32_f32_e32 v1, v1
	s_nop 0
	v_readfirstlane_b32 s9, v1
	s_mul_i32 s8, s8, s9
	s_mul_hi_u32 s8, s9, s8
	s_add_i32 s9, s9, s8
	s_mul_hi_u32 s8, s2, s9
	s_mul_i32 s12, s8, s18
	s_sub_i32 s12, s2, s12
	s_add_i32 s9, s8, 1
	s_sub_i32 s13, s12, s18
	s_cmp_ge_u32 s12, s18
	s_cselect_b32 s8, s9, s8
	s_cselect_b32 s12, s13, s12
	s_add_i32 s9, s8, 1
	s_cmp_ge_u32 s12, s18
	s_cselect_b32 s20, s9, s8
.LBB0_2:
	s_load_dwordx2 s[8:9], s[4:5], 0x10
	s_load_dwordx2 s[12:13], s[6:7], 0x8
	s_mov_b64 s[4:5], s[20:21]
	s_waitcnt lgkmcnt(0)
	v_mov_b64_e32 v[2:3], s[8:9]
	v_cmp_lt_u64_e32 vcc, s[20:21], v[2:3]
	s_cbranch_vccnz .LBB0_4
; %bb.3:
	v_cvt_f32_u32_e32 v1, s8
	s_sub_i32 s4, 0, s8
	v_rcp_iflag_f32_e32 v1, v1
	s_nop 0
	v_mul_f32_e32 v1, 0x4f7ffffe, v1
	v_cvt_u32_f32_e32 v1, v1
	s_nop 0
	v_readfirstlane_b32 s5, v1
	s_mul_i32 s4, s4, s5
	s_mul_hi_u32 s4, s5, s4
	s_add_i32 s5, s5, s4
	s_mul_hi_u32 s4, s20, s5
	s_mul_i32 s4, s4, s8
	s_sub_i32 s4, s20, s4
	s_sub_i32 s5, s4, s8
	s_cmp_ge_u32 s4, s8
	s_cselect_b32 s4, s5, s4
	s_sub_i32 s5, s4, s8
	s_cmp_ge_u32 s4, s8
	s_cselect_b32 s4, s5, s4
.LBB0_4:
	s_mul_i32 s5, s8, s19
	s_mul_hi_u32 s16, s8, s18
	s_add_i32 s5, s16, s5
	s_mul_i32 s9, s9, s18
	s_load_dwordx2 s[14:15], s[0:1], 0x50
	s_add_i32 s17, s5, s9
	s_mul_i32 s16, s8, s18
	s_load_dwordx2 s[8:9], s[6:7], 0x0
	s_load_dwordx2 s[22:23], s[6:7], 0x10
	v_mov_b64_e32 v[2:3], s[16:17]
	v_cmp_lt_u64_e32 vcc, s[2:3], v[2:3]
	s_mov_b64 s[24:25], 0
	s_cbranch_vccnz .LBB0_6
; %bb.5:
	v_cvt_f32_u32_e32 v1, s16
	s_sub_i32 s3, 0, s16
	v_rcp_iflag_f32_e32 v1, v1
	s_nop 0
	v_mul_f32_e32 v1, 0x4f7ffffe, v1
	v_cvt_u32_f32_e32 v1, v1
	s_nop 0
	v_readfirstlane_b32 s5, v1
	s_mul_i32 s3, s3, s5
	s_mul_hi_u32 s3, s5, s3
	s_add_i32 s5, s5, s3
	s_mul_hi_u32 s3, s2, s5
	s_mul_i32 s17, s3, s16
	s_sub_i32 s17, s2, s17
	s_add_i32 s5, s3, 1
	s_sub_i32 s21, s17, s16
	s_cmp_ge_u32 s17, s16
	s_cselect_b32 s3, s5, s3
	s_cselect_b32 s17, s21, s17
	s_add_i32 s5, s3, 1
	s_cmp_ge_u32 s17, s16
	s_cselect_b32 s24, s5, s3
.LBB0_6:
	s_mul_i32 s3, s20, s19
	s_mul_hi_u32 s5, s20, s18
	s_add_i32 s5, s5, s3
	s_mul_i32 s3, s20, s18
	s_sub_u32 s18, s2, s3
	s_subb_u32 s2, 0, s5
	s_mul_i32 s5, s2, 21
	s_mul_hi_u32 s2, s18, 21
	s_add_i32 s19, s2, s5
	s_mul_i32 s20, s18, 21
	s_mul_i32 s2, s12, s19
	s_mul_hi_u32 s3, s12, s20
	s_add_i32 s2, s3, s2
	s_mul_i32 s3, s13, s20
	s_add_i32 s21, s2, s3
	s_load_dwordx2 s[2:3], s[6:7], 0x18
	s_waitcnt lgkmcnt(0)
	s_mul_i32 s23, s23, s4
	s_mul_hi_u32 s26, s22, s4
	s_mul_i32 s25, s12, s20
	s_add_i32 s26, s26, s23
	s_mul_i32 s4, s22, s4
	s_add_u32 s4, s4, s25
	s_mul_i32 s3, s3, s24
	s_mul_hi_u32 s6, s2, s24
	v_mul_u32_u24_e32 v1, 0xc31, v0
	s_addc_u32 s7, s26, s21
	s_add_i32 s3, s6, s3
	s_mul_i32 s2, s2, s24
	v_lshrrev_b32_e32 v68, 16, v1
	s_add_u32 s6, s2, s4
	v_mul_lo_u16_e32 v1, 21, v68
	s_load_dwordx2 s[16:17], s[0:1], 0x0
	s_addc_u32 s7, s3, s7
	v_sub_u16_e32 v48, v0, v1
	v_mov_b32_e32 v49, 0
	v_mad_u64_u32 v[50:51], s[2:3], s18, 21, v[48:49]
	s_add_u32 s4, s20, 21
	v_add_u32_e32 v51, s5, v51
	s_addc_u32 s5, s19, 0
	v_mov_b64_e32 v[2:3], s[10:11]
	v_cmp_gt_u64_e32 vcc, s[4:5], v[2:3]
	v_cmp_le_u64_e64 s[2:3], s[4:5], v[2:3]
	s_and_b64 vcc, exec, vcc
	v_or_b32_e32 v35, 48, v68
	v_add_u32_e32 v37, 12, v68
	v_add_u32_e32 v36, 60, v68
	;; [unrolled: 1-line block ×4, first 2 shown]
	s_cbranch_vccnz .LBB0_8
; %bb.7:
	v_mad_u64_u32 v[2:3], s[4:5], s12, v48, 0
	v_mov_b32_e32 v4, v3
	v_mad_u64_u32 v[4:5], s[4:5], s13, v48, v[4:5]
	v_mov_b32_e32 v3, v4
	;; [unrolled: 2-line block ×3, first 2 shown]
	v_mad_u64_u32 v[6:7], s[4:5], s9, v68, v[6:7]
	s_lshl_b64 s[4:5], s[6:7], 3
	s_add_u32 s4, s14, s4
	s_addc_u32 s5, s15, s5
	v_or_b32_e32 v69, 48, v68
	v_mov_b32_e32 v5, v6
	v_lshl_add_u64 v[26:27], v[2:3], 3, s[4:5]
	v_mad_u64_u32 v[2:3], s[4:5], s8, v69, 0
	v_lshl_add_u64 v[10:11], v[4:5], 3, v[26:27]
	v_mov_b32_e32 v4, v3
	v_mad_u64_u32 v[4:5], s[4:5], s9, v69, v[4:5]
	v_mov_b32_e32 v3, v4
	v_or_b32_e32 v1, 0x60, v68
	v_lshl_add_u64 v[12:13], v[2:3], 3, v[26:27]
	v_mad_u64_u32 v[2:3], s[4:5], s8, v1, 0
	v_mov_b32_e32 v4, v3
	v_mad_u64_u32 v[4:5], s[4:5], s9, v1, v[4:5]
	v_mov_b32_e32 v3, v4
	v_or_b32_e32 v1, 0x90, v68
	v_lshl_add_u64 v[14:15], v[2:3], 3, v[26:27]
	v_mad_u64_u32 v[2:3], s[4:5], s8, v1, 0
	v_mov_b32_e32 v4, v3
	v_mad_u64_u32 v[4:5], s[4:5], s9, v1, v[4:5]
	v_mov_b32_e32 v3, v4
	v_add_u32_e32 v70, 12, v68
	v_lshl_add_u64 v[16:17], v[2:3], 3, v[26:27]
	global_load_dwordx2 v[4:5], v[10:11], off
	global_load_dwordx2 v[2:3], v[12:13], off
	global_load_dwordx2 v[8:9], v[14:15], off
	global_load_dwordx2 v[6:7], v[16:17], off
	v_mad_u64_u32 v[10:11], s[4:5], s8, v70, 0
	v_mov_b32_e32 v12, v11
	v_mad_u64_u32 v[12:13], s[4:5], s9, v70, v[12:13]
	v_mov_b32_e32 v11, v12
	v_add_u32_e32 v49, 60, v68
	v_lshl_add_u64 v[18:19], v[10:11], 3, v[26:27]
	v_mad_u64_u32 v[10:11], s[4:5], s8, v49, 0
	v_mov_b32_e32 v12, v11
	v_mad_u64_u32 v[12:13], s[4:5], s9, v49, v[12:13]
	v_mov_b32_e32 v11, v12
	v_add_u32_e32 v1, 0x6c, v68
	v_lshl_add_u64 v[20:21], v[10:11], 3, v[26:27]
	v_mad_u64_u32 v[10:11], s[4:5], s8, v1, 0
	v_mov_b32_e32 v12, v11
	v_mad_u64_u32 v[12:13], s[4:5], s9, v1, v[12:13]
	v_mov_b32_e32 v11, v12
	v_add_u32_e32 v1, 0x9c, v68
	v_lshl_add_u64 v[22:23], v[10:11], 3, v[26:27]
	v_mad_u64_u32 v[10:11], s[4:5], s8, v1, 0
	v_mov_b32_e32 v12, v11
	v_mad_u64_u32 v[12:13], s[4:5], s9, v1, v[12:13]
	v_mov_b32_e32 v11, v12
	v_add_u32_e32 v71, 24, v68
	v_lshl_add_u64 v[24:25], v[10:11], 3, v[26:27]
	global_load_dwordx2 v[12:13], v[18:19], off
	global_load_dwordx2 v[10:11], v[20:21], off
	global_load_dwordx2 v[16:17], v[22:23], off
	global_load_dwordx2 v[14:15], v[24:25], off
	v_mad_u64_u32 v[18:19], s[4:5], s8, v71, 0
	v_mov_b32_e32 v20, v19
	v_mad_u64_u32 v[20:21], s[4:5], s9, v71, v[20:21]
	v_mov_b32_e32 v19, v20
	v_add_u32_e32 v1, 0x48, v68
	v_lshl_add_u64 v[28:29], v[18:19], 3, v[26:27]
	v_mad_u64_u32 v[18:19], s[4:5], s8, v1, 0
	v_mov_b32_e32 v20, v19
	v_mad_u64_u32 v[20:21], s[4:5], s9, v1, v[20:21]
	v_mov_b32_e32 v19, v20
	v_add_u32_e32 v21, 0x78, v68
	v_lshl_add_u64 v[30:31], v[18:19], 3, v[26:27]
	v_mad_u64_u32 v[18:19], s[4:5], s8, v21, 0
	v_mov_b32_e32 v20, v19
	v_mad_u64_u32 v[20:21], s[4:5], s9, v21, v[20:21]
	v_mov_b32_e32 v19, v20
	v_add_u32_e32 v21, 0xa8, v68
	v_lshl_add_u64 v[32:33], v[18:19], 3, v[26:27]
	v_mad_u64_u32 v[18:19], s[4:5], s8, v21, 0
	v_mov_b32_e32 v20, v19
	v_mad_u64_u32 v[20:21], s[4:5], s9, v21, v[20:21]
	v_mov_b32_e32 v19, v20
	v_add_u32_e32 v72, 36, v68
	v_lshl_add_u64 v[40:41], v[18:19], 3, v[26:27]
	global_load_dwordx2 v[20:21], v[28:29], off
	global_load_dwordx2 v[18:19], v[30:31], off
	global_load_dwordx2 v[24:25], v[32:33], off
	global_load_dwordx2 v[22:23], v[40:41], off
	v_mad_u64_u32 v[28:29], s[4:5], s8, v72, 0
	v_mov_b32_e32 v30, v29
	v_mad_u64_u32 v[30:31], s[4:5], s9, v72, v[30:31]
	v_mov_b32_e32 v29, v30
	v_add_u32_e32 v34, 0x54, v68
	v_lshl_add_u64 v[40:41], v[28:29], 3, v[26:27]
	v_mad_u64_u32 v[28:29], s[4:5], s8, v34, 0
	v_mov_b32_e32 v30, v29
	v_mad_u64_u32 v[30:31], s[4:5], s9, v34, v[30:31]
	v_mov_b32_e32 v29, v30
	v_add_u32_e32 v31, 0x84, v68
	v_lshl_add_u64 v[42:43], v[28:29], 3, v[26:27]
	v_mad_u64_u32 v[28:29], s[4:5], s8, v31, 0
	v_mov_b32_e32 v30, v29
	v_mad_u64_u32 v[30:31], s[4:5], s9, v31, v[30:31]
	v_mov_b32_e32 v29, v30
	v_add_u32_e32 v31, 0xb4, v68
	v_lshl_add_u64 v[44:45], v[28:29], 3, v[26:27]
	v_mad_u64_u32 v[28:29], s[4:5], s8, v31, 0
	v_mov_b32_e32 v30, v29
	v_mad_u64_u32 v[30:31], s[4:5], s9, v31, v[30:31]
	v_mov_b32_e32 v29, v30
	v_lshl_add_u64 v[46:47], v[28:29], 3, v[26:27]
	global_load_dwordx2 v[28:29], v[40:41], off
	global_load_dwordx2 v[26:27], v[42:43], off
	;; [unrolled: 1-line block ×4, first 2 shown]
	s_cbranch_execz .LBB0_9
	s_branch .LBB0_14
.LBB0_8:
                                        ; implicit-def: $vgpr7
                                        ; implicit-def: $vgpr3
                                        ; implicit-def: $vgpr9
                                        ; implicit-def: $vgpr5
                                        ; implicit-def: $vgpr15
                                        ; implicit-def: $vgpr11
                                        ; implicit-def: $vgpr17
                                        ; implicit-def: $vgpr13
                                        ; implicit-def: $vgpr23
                                        ; implicit-def: $vgpr19
                                        ; implicit-def: $vgpr25
                                        ; implicit-def: $vgpr21
                                        ; implicit-def: $vgpr31
                                        ; implicit-def: $vgpr27
                                        ; implicit-def: $vgpr33
                                        ; implicit-def: $vgpr29
                                        ; implicit-def: $vgpr70
                                        ; implicit-def: $vgpr71
                                        ; implicit-def: $vgpr72
                                        ; implicit-def: $vgpr69
                                        ; implicit-def: $vgpr49
                                        ; implicit-def: $vgpr1
                                        ; implicit-def: $vgpr34
.LBB0_9:
	v_cmp_le_u64_e32 vcc, s[10:11], v[50:51]
                                        ; implicit-def: $vgpr70
                                        ; implicit-def: $vgpr71
                                        ; implicit-def: $vgpr72
                                        ; implicit-def: $vgpr69
                                        ; implicit-def: $vgpr49
                                        ; implicit-def: $vgpr1
                                        ; implicit-def: $vgpr34
	s_and_saveexec_b64 s[4:5], vcc
	s_xor_b64 s[4:5], exec, s[4:5]
; %bb.10:
	v_add_u32_e32 v70, 12, v68
	v_add_u32_e32 v71, 24, v68
	v_add_u32_e32 v72, 36, v68
	v_or_b32_e32 v69, 48, v68
	v_add_u32_e32 v49, 60, v68
	v_add_u32_e32 v1, 0x48, v68
	;; [unrolled: 1-line block ×3, first 2 shown]
                                        ; implicit-def: $vgpr35
                                        ; implicit-def: $vgpr37
                                        ; implicit-def: $vgpr36
                                        ; implicit-def: $vgpr38
                                        ; implicit-def: $vgpr39
; %bb.11:
	s_or_saveexec_b64 s[4:5], s[4:5]
                                        ; implicit-def: $vgpr7
                                        ; implicit-def: $vgpr3
                                        ; implicit-def: $vgpr9
                                        ; implicit-def: $vgpr5
                                        ; implicit-def: $vgpr15
                                        ; implicit-def: $vgpr11
                                        ; implicit-def: $vgpr17
                                        ; implicit-def: $vgpr13
                                        ; implicit-def: $vgpr23
                                        ; implicit-def: $vgpr19
                                        ; implicit-def: $vgpr25
                                        ; implicit-def: $vgpr21
                                        ; implicit-def: $vgpr31
                                        ; implicit-def: $vgpr27
                                        ; implicit-def: $vgpr33
                                        ; implicit-def: $vgpr29
	s_xor_b64 exec, exec, s[4:5]
	s_cbranch_execz .LBB0_13
; %bb.12:
	s_waitcnt vmcnt(14)
	v_mad_u64_u32 v[2:3], s[18:19], s12, v48, 0
	v_mov_b32_e32 v4, v3
	v_mad_u64_u32 v[4:5], s[18:19], s13, v48, v[4:5]
	v_mov_b32_e32 v3, v4
	v_mad_u64_u32 v[4:5], s[18:19], s8, v68, 0
	s_waitcnt vmcnt(12)
	v_mov_b32_e32 v6, v5
	v_mad_u64_u32 v[6:7], s[18:19], s9, v68, v[6:7]
	s_lshl_b64 s[18:19], s[6:7], 3
	s_add_u32 s18, s14, s18
	s_addc_u32 s19, s15, s19
	v_mov_b32_e32 v5, v6
	s_waitcnt vmcnt(2)
	v_lshl_add_u64 v[26:27], v[2:3], 3, s[18:19]
	v_mad_u64_u32 v[2:3], s[18:19], s8, v35, 0
	v_lshl_add_u64 v[10:11], v[4:5], 3, v[26:27]
	v_mov_b32_e32 v4, v3
	v_mad_u64_u32 v[4:5], s[18:19], s9, v35, v[4:5]
	v_mov_b32_e32 v3, v4
	v_or_b32_e32 v1, 0x60, v68
	v_lshl_add_u64 v[12:13], v[2:3], 3, v[26:27]
	v_mad_u64_u32 v[2:3], s[18:19], s8, v1, 0
	v_mov_b32_e32 v4, v3
	v_mad_u64_u32 v[4:5], s[18:19], s9, v1, v[4:5]
	v_mov_b32_e32 v3, v4
	v_or_b32_e32 v1, 0x90, v68
	v_lshl_add_u64 v[14:15], v[2:3], 3, v[26:27]
	v_mad_u64_u32 v[2:3], s[18:19], s8, v1, 0
	v_mov_b32_e32 v4, v3
	v_mad_u64_u32 v[4:5], s[18:19], s9, v1, v[4:5]
	v_mov_b32_e32 v3, v4
	v_lshl_add_u64 v[16:17], v[2:3], 3, v[26:27]
	global_load_dwordx2 v[4:5], v[10:11], off
	global_load_dwordx2 v[2:3], v[12:13], off
	;; [unrolled: 1-line block ×4, first 2 shown]
	v_mad_u64_u32 v[10:11], s[18:19], s8, v37, 0
	v_mov_b32_e32 v12, v11
	v_mad_u64_u32 v[12:13], s[18:19], s9, v37, v[12:13]
	v_mov_b32_e32 v11, v12
	v_lshl_add_u64 v[18:19], v[10:11], 3, v[26:27]
	v_mad_u64_u32 v[10:11], s[18:19], s8, v36, 0
	v_mov_b32_e32 v12, v11
	v_mad_u64_u32 v[12:13], s[18:19], s9, v36, v[12:13]
	v_mov_b32_e32 v11, v12
	v_add_u32_e32 v1, 0x6c, v68
	v_lshl_add_u64 v[20:21], v[10:11], 3, v[26:27]
	v_mad_u64_u32 v[10:11], s[18:19], s8, v1, 0
	v_mov_b32_e32 v12, v11
	v_mad_u64_u32 v[12:13], s[18:19], s9, v1, v[12:13]
	v_mov_b32_e32 v11, v12
	v_add_u32_e32 v1, 0x9c, v68
	v_lshl_add_u64 v[22:23], v[10:11], 3, v[26:27]
	v_mad_u64_u32 v[10:11], s[18:19], s8, v1, 0
	v_mov_b32_e32 v12, v11
	v_mad_u64_u32 v[12:13], s[18:19], s9, v1, v[12:13]
	v_mov_b32_e32 v11, v12
	v_lshl_add_u64 v[24:25], v[10:11], 3, v[26:27]
	global_load_dwordx2 v[12:13], v[18:19], off
	global_load_dwordx2 v[10:11], v[20:21], off
	;; [unrolled: 1-line block ×4, first 2 shown]
	v_mad_u64_u32 v[18:19], s[18:19], s8, v38, 0
	v_mov_b32_e32 v20, v19
	v_mad_u64_u32 v[20:21], s[18:19], s9, v38, v[20:21]
	v_mov_b32_e32 v19, v20
	v_add_u32_e32 v1, 0x48, v68
	v_lshl_add_u64 v[28:29], v[18:19], 3, v[26:27]
	v_mad_u64_u32 v[18:19], s[18:19], s8, v1, 0
	v_mov_b32_e32 v20, v19
	v_mad_u64_u32 v[20:21], s[18:19], s9, v1, v[20:21]
	v_mov_b32_e32 v19, v20
	v_add_u32_e32 v21, 0x78, v68
	s_waitcnt vmcnt(8)
	v_lshl_add_u64 v[30:31], v[18:19], 3, v[26:27]
	v_mad_u64_u32 v[18:19], s[18:19], s8, v21, 0
	v_mov_b32_e32 v20, v19
	v_mad_u64_u32 v[20:21], s[18:19], s9, v21, v[20:21]
	v_mov_b32_e32 v19, v20
	v_add_u32_e32 v21, 0xa8, v68
	v_lshl_add_u64 v[32:33], v[18:19], 3, v[26:27]
	v_mad_u64_u32 v[18:19], s[18:19], s8, v21, 0
	v_mov_b32_e32 v20, v19
	v_mad_u64_u32 v[20:21], s[18:19], s9, v21, v[20:21]
	v_mov_b32_e32 v19, v20
	v_lshl_add_u64 v[40:41], v[18:19], 3, v[26:27]
	global_load_dwordx2 v[20:21], v[28:29], off
	global_load_dwordx2 v[18:19], v[30:31], off
	;; [unrolled: 1-line block ×4, first 2 shown]
	v_mad_u64_u32 v[28:29], s[18:19], s8, v39, 0
	v_mov_b32_e32 v30, v29
	v_mad_u64_u32 v[30:31], s[18:19], s9, v39, v[30:31]
	v_mov_b32_e32 v29, v30
	v_add_u32_e32 v34, 0x54, v68
	v_lshl_add_u64 v[40:41], v[28:29], 3, v[26:27]
	v_mad_u64_u32 v[28:29], s[18:19], s8, v34, 0
	v_mov_b32_e32 v30, v29
	v_mad_u64_u32 v[30:31], s[18:19], s9, v34, v[30:31]
	v_mov_b32_e32 v29, v30
	v_add_u32_e32 v31, 0x84, v68
	v_lshl_add_u64 v[42:43], v[28:29], 3, v[26:27]
	;; [unrolled: 6-line block ×3, first 2 shown]
	v_mad_u64_u32 v[28:29], s[18:19], s8, v31, 0
	v_mov_b32_e32 v30, v29
	v_mad_u64_u32 v[30:31], s[18:19], s9, v31, v[30:31]
	v_mov_b32_e32 v29, v30
	v_lshl_add_u64 v[46:47], v[28:29], 3, v[26:27]
	global_load_dwordx2 v[28:29], v[40:41], off
	global_load_dwordx2 v[26:27], v[42:43], off
	;; [unrolled: 1-line block ×4, first 2 shown]
	v_mov_b32_e32 v70, v37
	v_mov_b32_e32 v71, v38
	;; [unrolled: 1-line block ×5, first 2 shown]
.LBB0_13:
	s_or_b64 exec, exec, s[4:5]
.LBB0_14:
	s_waitcnt vmcnt(13)
	v_pk_add_f32 v[8:9], v[4:5], v[8:9] neg_lo:[0,1] neg_hi:[0,1]
	s_waitcnt vmcnt(12)
	v_pk_add_f32 v[36:37], v[2:3], v[6:7] neg_lo:[0,1] neg_hi:[0,1]
	v_pk_fma_f32 v[4:5], v[4:5], 2.0, v[8:9] op_sel_hi:[1,0,1] neg_lo:[0,0,1] neg_hi:[0,0,1]
	v_pk_fma_f32 v[2:3], v[2:3], 2.0, v[36:37] op_sel_hi:[1,0,1] neg_lo:[0,0,1] neg_hi:[0,0,1]
	v_pk_add_f32 v[38:39], v[8:9], v[36:37] op_sel:[0,1] op_sel_hi:[1,0] neg_lo:[0,1] neg_hi:[0,1]
	v_pk_add_f32 v[36:37], v[8:9], v[36:37] op_sel:[0,1] op_sel_hi:[1,0]
	v_mul_u32_u24_e32 v7, 0x2a0, v68
	v_lshlrev_b32_e32 v6, 3, v48
	v_pk_add_f32 v[2:3], v[4:5], v[2:3] neg_lo:[0,1] neg_hi:[0,1]
	v_mov_b32_e32 v39, v37
	v_add3_u32 v7, 0, v7, v6
	v_pk_fma_f32 v[4:5], v[4:5], 2.0, v[2:3] op_sel_hi:[1,0,1] neg_lo:[0,0,1] neg_hi:[0,0,1]
	v_pk_fma_f32 v[8:9], v[8:9], 2.0, v[38:39] op_sel_hi:[1,0,1] neg_lo:[0,0,1] neg_hi:[0,0,1]
	s_waitcnt vmcnt(9)
	v_pk_add_f32 v[16:17], v[12:13], v[16:17] neg_lo:[0,1] neg_hi:[0,1]
	s_waitcnt vmcnt(8)
	v_pk_add_f32 v[14:15], v[10:11], v[14:15] neg_lo:[0,1] neg_hi:[0,1]
	ds_write2_b64 v7, v[4:5], v[8:9] offset1:21
	ds_write2_b64 v7, v[2:3], v[38:39] offset0:42 offset1:63
	v_mul_i32_i24_e32 v2, 0x2a0, v70
	v_add3_u32 v35, 0, v2, v6
	v_pk_fma_f32 v[2:3], v[12:13], 2.0, v[16:17] op_sel_hi:[1,0,1] neg_lo:[0,0,1] neg_hi:[0,0,1]
	v_pk_fma_f32 v[4:5], v[10:11], 2.0, v[14:15] op_sel_hi:[1,0,1] neg_lo:[0,0,1] neg_hi:[0,0,1]
	v_pk_add_f32 v[8:9], v[16:17], v[14:15] op_sel:[0,1] op_sel_hi:[1,0] neg_lo:[0,1] neg_hi:[0,1]
	v_pk_add_f32 v[10:11], v[16:17], v[14:15] op_sel:[0,1] op_sel_hi:[1,0]
	v_pk_add_f32 v[4:5], v[2:3], v[4:5] neg_lo:[0,1] neg_hi:[0,1]
	v_mov_b32_e32 v9, v11
	v_pk_fma_f32 v[2:3], v[2:3], 2.0, v[4:5] op_sel_hi:[1,0,1] neg_lo:[0,0,1] neg_hi:[0,0,1]
	v_pk_fma_f32 v[10:11], v[16:17], 2.0, v[8:9] op_sel_hi:[1,0,1] neg_lo:[0,0,1] neg_hi:[0,0,1]
	s_waitcnt vmcnt(5)
	v_pk_add_f32 v[24:25], v[20:21], v[24:25] neg_lo:[0,1] neg_hi:[0,1]
	s_waitcnt vmcnt(4)
	v_pk_add_f32 v[22:23], v[18:19], v[22:23] neg_lo:[0,1] neg_hi:[0,1]
	ds_write2_b64 v35, v[2:3], v[10:11] offset1:21
	ds_write2_b64 v35, v[4:5], v[8:9] offset0:42 offset1:63
	v_mul_i32_i24_e32 v2, 0x2a0, v71
	v_add3_u32 v12, 0, v2, v6
	v_pk_fma_f32 v[2:3], v[20:21], 2.0, v[24:25] op_sel_hi:[1,0,1] neg_lo:[0,0,1] neg_hi:[0,0,1]
	v_pk_fma_f32 v[4:5], v[18:19], 2.0, v[22:23] op_sel_hi:[1,0,1] neg_lo:[0,0,1] neg_hi:[0,0,1]
	v_pk_add_f32 v[8:9], v[24:25], v[22:23] op_sel:[0,1] op_sel_hi:[1,0] neg_lo:[0,1] neg_hi:[0,1]
	v_pk_add_f32 v[10:11], v[24:25], v[22:23] op_sel:[0,1] op_sel_hi:[1,0]
	v_pk_add_f32 v[4:5], v[2:3], v[4:5] neg_lo:[0,1] neg_hi:[0,1]
	v_mov_b32_e32 v9, v11
	;; [unrolled: 16-line block ×3, first 2 shown]
	v_pk_fma_f32 v[2:3], v[2:3], 2.0, v[4:5] op_sel_hi:[1,0,1] neg_lo:[0,0,1] neg_hi:[0,0,1]
	v_pk_fma_f32 v[10:11], v[32:33], 2.0, v[8:9] op_sel_hi:[1,0,1] neg_lo:[0,0,1] neg_hi:[0,0,1]
	ds_write2_b64 v12, v[2:3], v[10:11] offset1:21
	ds_write2_b64 v12, v[4:5], v[8:9] offset0:42 offset1:63
	v_and_b32_e32 v2, 3, v68
	v_mul_u32_u24_e32 v2, 3, v2
	v_lshlrev_b32_e32 v2, 3, v2
	s_waitcnt lgkmcnt(0)
	s_barrier
	global_load_dwordx4 v[12:15], v2, s[16:17]
	global_load_dwordx2 v[28:29], v2, s[16:17] offset:16
	s_movk_i32 s4, 0xfe08
	v_mul_i32_i24_e32 v3, 0xa8, v71
	v_add3_u32 v9, 0, v3, v6
	v_mad_i32_i24 v3, v68, s4, v7
	v_add_u32_e32 v4, 0x3f00, v3
	v_mad_i32_i24 v10, v70, s4, v35
	v_add_u32_e32 v7, 0x2400, v3
	v_add_u32_e32 v8, 0x2f40, v3
	;; [unrolled: 1-line block ×3, first 2 shown]
	ds_read2_b64 v[16:19], v4 offset1:252
	ds_read2_b64 v[20:23], v8 offset1:252
	ds_read2_b32 v[30:31], v7 offset0:216 offset1:217
	ds_read_b64 v[32:33], v10
	ds_read_b64 v[36:37], v9
	ds_read2_b64 v[24:27], v5 offset1:252
	v_mul_i32_i24_e32 v2, 0xa8, v69
	v_add3_u32 v2, 0, v2, v6
	v_add_u32_e32 v7, 0x6e40, v3
	v_add_u32_e32 v82, 0x5e80, v3
	s_movk_i32 s4, 0x7ff3
	v_and_b32_e32 v73, 15, v70
	s_waitcnt vmcnt(1)
	v_mov_b32_e32 v8, v15
	s_waitcnt lgkmcnt(4)
	v_pk_mul_f32 v[38:39], v[22:23], v[12:13] op_sel:[0,1]
	v_pk_mul_f32 v[40:41], v[20:21], v[12:13] op_sel:[0,1]
	s_waitcnt lgkmcnt(0)
	v_pk_mul_f32 v[44:45], v[26:27], v[8:9] op_sel_hi:[1,0]
	v_pk_fma_f32 v[42:43], v[22:23], v[12:13], v[38:39] op_sel:[0,0,1] op_sel_hi:[1,1,0] neg_lo:[0,0,1] neg_hi:[0,0,1]
	v_pk_fma_f32 v[22:23], v[22:23], v[12:13], v[38:39] op_sel:[0,0,1] op_sel_hi:[1,0,0]
	v_pk_fma_f32 v[38:39], v[20:21], v[12:13], v[40:41] op_sel:[0,0,1] op_sel_hi:[1,1,0] neg_lo:[0,0,1] neg_hi:[0,0,1]
	v_pk_fma_f32 v[40:41], v[20:21], v[12:13], v[40:41] op_sel:[0,0,1] op_sel_hi:[1,0,0]
	v_pk_mul_f32 v[20:21], v[14:15], v[16:17] op_sel:[0,1]
	v_pk_fma_f32 v[46:47], v[26:27], v[14:15], v[44:45] op_sel:[0,0,1] op_sel_hi:[1,1,0] neg_lo:[0,0,1] neg_hi:[0,0,1]
	v_pk_fma_f32 v[26:27], v[26:27], v[14:15], v[44:45] op_sel:[0,0,1] op_sel_hi:[1,0,0]
	v_pk_mul_f32 v[44:45], v[24:25], v[8:9] op_sel_hi:[1,0]
	v_pk_fma_f32 v[54:55], v[14:15], v[16:17], v[20:21] op_sel:[0,0,1] op_sel_hi:[1,0,0]
	v_pk_fma_f32 v[52:53], v[24:25], v[14:15], v[44:45] op_sel:[0,0,1] op_sel_hi:[1,1,0] neg_lo:[0,0,1] neg_hi:[0,0,1]
	v_pk_fma_f32 v[24:25], v[24:25], v[14:15], v[44:45] op_sel:[0,0,1] op_sel_hi:[1,0,0]
	v_pk_fma_f32 v[44:45], v[14:15], v[16:17], v[20:21] op_sel:[0,0,1] op_sel_hi:[1,1,0] neg_lo:[0,0,1] neg_hi:[0,0,1]
	v_pk_mul_f32 v[16:17], v[18:19], v[8:9] op_sel_hi:[1,0]
	v_mov_b32_e32 v8, v31
	v_pk_fma_f32 v[56:57], v[18:19], v[14:15], v[16:17] op_sel:[0,0,1] op_sel_hi:[1,1,0] neg_lo:[0,0,1] neg_hi:[0,0,1]
	v_pk_fma_f32 v[58:59], v[18:19], v[14:15], v[16:17] op_sel:[0,0,1] op_sel_hi:[1,0,0]
	ds_read_b64 v[18:19], v2
	v_pk_mul_f32 v[14:15], v[8:9], v[12:13] op_sel_hi:[0,1]
	v_pk_fma_f32 v[60:61], v[12:13], v[30:31], v[14:15] op_sel:[0,0,1] op_sel_hi:[1,1,0] neg_lo:[0,0,1] neg_hi:[0,0,1]
	v_pk_fma_f32 v[30:31], v[12:13], v[30:31], v[14:15] op_sel:[0,0,1] op_sel_hi:[1,0,0]
	ds_read2_b64 v[14:17], v7 offset1:252
	ds_read_b64 v[62:63], v3
	s_waitcnt lgkmcnt(2)
	v_pk_mul_f32 v[20:21], v[12:13], v[18:19] op_sel:[0,1]
	v_mul_i32_i24_e32 v8, 0xa8, v72
	v_pk_fma_f32 v[64:65], v[12:13], v[18:19], v[20:21] op_sel:[0,0,1] op_sel_hi:[1,1,0] neg_lo:[0,0,1] neg_hi:[0,0,1]
	v_pk_fma_f32 v[12:13], v[12:13], v[18:19], v[20:21] op_sel:[0,0,1] op_sel_hi:[1,0,0]
	ds_read2_b64 v[18:21], v82 offset1:252
	v_lshlrev_b32_e32 v12, 2, v70
	v_bitop3_b32 v12, v12, s4, v68 bitop3:0xc8
	s_waitcnt vmcnt(0) lgkmcnt(2)
	v_pk_mul_f32 v[66:67], v[16:17], v[28:29] op_sel:[0,1]
	v_mul_u32_u24_e32 v12, 0xa8, v12
	v_pk_fma_f32 v[74:75], v[16:17], v[28:29], v[66:67] op_sel:[0,0,1] op_sel_hi:[1,1,0] neg_lo:[0,0,1] neg_hi:[0,0,1]
	v_pk_fma_f32 v[16:17], v[16:17], v[28:29], v[66:67] op_sel:[0,0,1] op_sel_hi:[1,0,0]
	v_pk_mul_f32 v[66:67], v[14:15], v[28:29] op_sel:[0,1]
	v_add3_u32 v35, 0, v12, v6
	v_lshlrev_b32_e32 v12, 2, v71
	v_pk_fma_f32 v[76:77], v[14:15], v[28:29], v[66:67] op_sel:[0,0,1] op_sel_hi:[1,1,0] neg_lo:[0,0,1] neg_hi:[0,0,1]
	v_pk_fma_f32 v[14:15], v[14:15], v[28:29], v[66:67] op_sel:[0,0,1] op_sel_hi:[1,0,0]
	v_add3_u32 v11, 0, v8, v6
	v_bitop3_b32 v12, v12, s4, v68 bitop3:0xc8
	v_mov_b32_e32 v77, v15
	ds_read_b64 v[14:15], v11
	v_mul_u32_u24_e32 v12, 0xa8, v12
	s_waitcnt lgkmcnt(1)
	v_pk_mul_f32 v[66:67], v[28:29], v[18:19] op_sel:[0,1]
	v_add3_u32 v54, 0, v12, v6
	v_lshlrev_b32_e32 v12, 2, v72
	v_pk_fma_f32 v[78:79], v[28:29], v[18:19], v[66:67] op_sel:[0,0,1] op_sel_hi:[1,1,0] neg_lo:[0,0,1] neg_hi:[0,0,1]
	v_pk_fma_f32 v[18:19], v[28:29], v[18:19], v[66:67] op_sel:[0,0,1] op_sel_hi:[1,0,0]
	v_pk_mul_f32 v[66:67], v[20:21], v[28:29] op_sel:[0,1]
	v_bitop3_b32 v12, v12, s4, v68 bitop3:0xc8
	v_pk_fma_f32 v[80:81], v[20:21], v[28:29], v[66:67] op_sel:[0,0,1] op_sel_hi:[1,1,0] neg_lo:[0,0,1] neg_hi:[0,0,1]
	v_pk_fma_f32 v[20:21], v[20:21], v[28:29], v[66:67] op_sel:[0,0,1] op_sel_hi:[1,0,0]
	v_mov_b32_e32 v45, v55
	v_mov_b32_e32 v79, v19
	;; [unrolled: 1-line block ×3, first 2 shown]
	v_mul_u32_u24_e32 v12, 0xa8, v12
	v_mov_b32_e32 v47, v27
	v_lshlrev_b32_e32 v8, 2, v68
	v_add3_u32 v55, 0, v12, v6
	v_pk_add_f32 v[12:13], v[62:63], v[44:45] neg_lo:[0,1] neg_hi:[0,1]
	v_mov_b32_e32 v81, v21
	v_pk_add_f32 v[20:21], v[64:65], v[78:79] neg_lo:[0,1] neg_hi:[0,1]
	v_mov_b32_e32 v75, v17
	v_bitop3_b32 v8, v8, 51, v68 bitop3:0xc8
	v_mov_b32_e32 v57, v59
	v_pk_fma_f32 v[16:17], v[62:63], 2.0, v[12:13] op_sel_hi:[1,0,1] neg_lo:[0,0,1] neg_hi:[0,0,1]
	s_waitcnt lgkmcnt(0)
	v_pk_add_f32 v[18:19], v[14:15], v[46:47] neg_lo:[0,1] neg_hi:[0,1]
	v_pk_fma_f32 v[26:27], v[64:65], 2.0, v[20:21] op_sel_hi:[1,0,1] neg_lo:[0,0,1] neg_hi:[0,0,1]
	v_pk_add_f32 v[46:47], v[12:13], v[20:21] op_sel:[0,1] op_sel_hi:[1,0] neg_lo:[0,1] neg_hi:[0,1]
	v_pk_add_f32 v[20:21], v[12:13], v[20:21] op_sel:[0,1] op_sel_hi:[1,0]
	v_mov_b32_e32 v61, v31
	v_mov_b32_e32 v53, v25
	v_mul_u32_u24_e32 v8, 0xa8, v8
	v_pk_add_f32 v[26:27], v[16:17], v[26:27] neg_lo:[0,1] neg_hi:[0,1]
	v_pk_add_f32 v[28:29], v[32:33], v[56:57] neg_lo:[0,1] neg_hi:[0,1]
	v_mov_b32_e32 v47, v21
	v_mov_b32_e32 v43, v23
	v_add3_u32 v8, 0, v8, v6
	v_pk_add_f32 v[22:23], v[36:37], v[52:53] neg_lo:[0,1] neg_hi:[0,1]
	v_pk_fma_f32 v[16:17], v[16:17], 2.0, v[26:27] op_sel_hi:[1,0,1] neg_lo:[0,0,1] neg_hi:[0,0,1]
	v_pk_fma_f32 v[30:31], v[32:33], 2.0, v[28:29] op_sel_hi:[1,0,1] neg_lo:[0,0,1] neg_hi:[0,0,1]
	v_pk_add_f32 v[32:33], v[60:61], v[80:81] neg_lo:[0,1] neg_hi:[0,1]
	v_pk_fma_f32 v[12:13], v[12:13], 2.0, v[46:47] op_sel_hi:[1,0,1] neg_lo:[0,0,1] neg_hi:[0,0,1]
	v_pk_fma_f32 v[24:25], v[36:37], 2.0, v[22:23] op_sel_hi:[1,0,1] neg_lo:[0,0,1] neg_hi:[0,0,1]
	;; [unrolled: 1-line block ×3, first 2 shown]
	s_barrier
	ds_write2_b64 v8, v[16:17], v[12:13] offset1:84
	ds_write2_b64 v8, v[26:27], v[46:47] offset0:168 offset1:252
	v_pk_add_f32 v[12:13], v[28:29], v[32:33] op_sel:[0,1] op_sel_hi:[1,0] neg_lo:[0,1] neg_hi:[0,1]
	v_pk_add_f32 v[16:17], v[28:29], v[32:33] op_sel:[0,1] op_sel_hi:[1,0]
	v_mov_b32_e32 v39, v41
	v_pk_add_f32 v[36:37], v[30:31], v[36:37] neg_lo:[0,1] neg_hi:[0,1]
	v_mov_b32_e32 v13, v17
	v_pk_fma_f32 v[30:31], v[30:31], 2.0, v[36:37] op_sel_hi:[1,0,1] neg_lo:[0,0,1] neg_hi:[0,0,1]
	v_pk_add_f32 v[44:45], v[38:39], v[76:77] neg_lo:[0,1] neg_hi:[0,1]
	v_pk_fma_f32 v[16:17], v[28:29], 2.0, v[12:13] op_sel_hi:[1,0,1] neg_lo:[0,0,1] neg_hi:[0,0,1]
	v_pk_fma_f32 v[38:39], v[38:39], 2.0, v[44:45] op_sel_hi:[1,0,1] neg_lo:[0,0,1] neg_hi:[0,0,1]
	ds_write2_b64 v35, v[30:31], v[16:17] offset1:84
	ds_write2_b64 v35, v[36:37], v[12:13] offset0:168 offset1:252
	v_pk_add_f32 v[12:13], v[22:23], v[44:45] op_sel:[0,1] op_sel_hi:[1,0] neg_lo:[0,1] neg_hi:[0,1]
	v_pk_add_f32 v[16:17], v[22:23], v[44:45] op_sel:[0,1] op_sel_hi:[1,0]
	v_pk_add_f32 v[38:39], v[24:25], v[38:39] neg_lo:[0,1] neg_hi:[0,1]
	v_mov_b32_e32 v13, v17
	v_pk_add_f32 v[40:41], v[42:43], v[74:75] neg_lo:[0,1] neg_hi:[0,1]
	v_pk_fma_f32 v[24:25], v[24:25], 2.0, v[38:39] op_sel_hi:[1,0,1] neg_lo:[0,0,1] neg_hi:[0,0,1]
	v_pk_fma_f32 v[16:17], v[22:23], 2.0, v[12:13] op_sel_hi:[1,0,1] neg_lo:[0,0,1] neg_hi:[0,0,1]
	;; [unrolled: 1-line block ×4, first 2 shown]
	ds_write2_b64 v54, v[24:25], v[16:17] offset1:84
	ds_write2_b64 v54, v[38:39], v[12:13] offset0:168 offset1:252
	v_pk_add_f32 v[12:13], v[18:19], v[40:41] op_sel:[0,1] op_sel_hi:[1,0] neg_lo:[0,1] neg_hi:[0,1]
	v_pk_add_f32 v[16:17], v[18:19], v[40:41] op_sel:[0,1] op_sel_hi:[1,0]
	v_pk_add_f32 v[42:43], v[14:15], v[42:43] neg_lo:[0,1] neg_hi:[0,1]
	v_mov_b32_e32 v13, v17
	v_and_b32_e32 v35, 15, v34
	v_pk_fma_f32 v[14:15], v[14:15], 2.0, v[42:43] op_sel_hi:[1,0,1] neg_lo:[0,0,1] neg_hi:[0,0,1]
	v_pk_fma_f32 v[16:17], v[18:19], 2.0, v[12:13] op_sel_hi:[1,0,1] neg_lo:[0,0,1] neg_hi:[0,0,1]
	v_lshlrev_b32_e32 v8, 3, v35
	v_and_b32_e32 v66, 15, v1
	v_lshlrev_b32_e32 v76, 3, v68
	ds_write2_b64 v55, v[14:15], v[16:17] offset1:84
	ds_write2_b64 v55, v[42:43], v[12:13] offset0:168 offset1:252
	s_waitcnt lgkmcnt(0)
	s_barrier
	global_load_dwordx2 v[24:25], v8, s[16:17] offset:96
	global_load_dwordx2 v[36:37], v76, s[16:17] offset:96
	v_lshlrev_b32_e32 v8, 3, v66
	global_load_dwordx2 v[26:27], v8, s[16:17] offset:96
	v_and_b32_e32 v8, 15, v72
	v_lshlrev_b32_e32 v12, 3, v8
	v_and_b32_e32 v67, 15, v71
	global_load_dwordx2 v[28:29], v12, s[16:17] offset:96
	v_lshlrev_b32_e32 v12, 3, v67
	global_load_dwordx2 v[30:31], v12, s[16:17] offset:96
	v_lshlrev_b32_e32 v12, 3, v73
	global_load_dwordx2 v[32:33], v12, s[16:17] offset:96
	v_and_b32_e32 v77, 15, v49
	v_lshlrev_b32_e32 v12, 3, v77
	global_load_dwordx2 v[38:39], v12, s[16:17] offset:96
	ds_read2_b64 v[12:15], v7 offset1:252
	ds_read2_b64 v[16:19], v4 offset1:252
	;; [unrolled: 1-line block ×3, first 2 shown]
	s_movk_i32 s4, 0x3fe0
	v_lshlrev_b32_e32 v74, 1, v72
	v_and_or_b32 v8, v74, s4, v8
	v_lshlrev_b32_e32 v75, 1, v71
	v_mul_u32_u24_e32 v8, 0xa8, v8
	s_waitcnt vmcnt(6) lgkmcnt(2)
	v_pk_mul_f32 v[40:41], v[14:15], v[24:25] op_sel:[0,1]
	s_nop 0
	v_pk_fma_f32 v[42:43], v[14:15], v[24:25], v[40:41] op_sel:[0,0,1] op_sel_hi:[1,1,0] neg_lo:[0,0,1] neg_hi:[0,0,1]
	v_pk_fma_f32 v[24:25], v[14:15], v[24:25], v[40:41] op_sel:[0,0,1] op_sel_hi:[1,0,0]
	s_waitcnt vmcnt(4)
	v_pk_mul_f32 v[14:15], v[12:13], v[26:27] op_sel:[0,1]
	v_lshlrev_b32_e32 v40, 1, v70
	v_pk_fma_f32 v[44:45], v[12:13], v[26:27], v[14:15] op_sel:[0,0,1] op_sel_hi:[1,1,0] neg_lo:[0,0,1] neg_hi:[0,0,1]
	v_pk_fma_f32 v[26:27], v[12:13], v[26:27], v[14:15] op_sel:[0,0,1] op_sel_hi:[1,0,0]
	s_waitcnt vmcnt(3) lgkmcnt(0)
	v_pk_mul_f32 v[12:13], v[28:29], v[22:23] op_sel:[0,1]
	v_mov_b32_e32 v43, v25
	v_pk_fma_f32 v[46:47], v[28:29], v[22:23], v[12:13] op_sel:[0,0,1] op_sel_hi:[1,1,0] neg_lo:[0,0,1] neg_hi:[0,0,1]
	v_pk_fma_f32 v[22:23], v[28:29], v[22:23], v[12:13] op_sel:[0,0,1] op_sel_hi:[1,0,0]
	s_waitcnt vmcnt(2)
	v_pk_mul_f32 v[12:13], v[30:31], v[20:21] op_sel:[0,1]
	s_waitcnt vmcnt(1)
	v_pk_mul_f32 v[28:29], v[32:33], v[18:19] op_sel:[0,1]
	v_pk_fma_f32 v[52:53], v[30:31], v[20:21], v[12:13] op_sel:[0,0,1] op_sel_hi:[1,1,0] neg_lo:[0,0,1] neg_hi:[0,0,1]
	v_pk_fma_f32 v[20:21], v[30:31], v[20:21], v[12:13] op_sel:[0,0,1] op_sel_hi:[1,0,0]
	ds_read2_b64 v[12:15], v82 offset1:252
	v_pk_fma_f32 v[30:31], v[32:33], v[18:19], v[28:29] op_sel:[0,0,1] op_sel_hi:[1,1,0] neg_lo:[0,0,1] neg_hi:[0,0,1]
	v_pk_fma_f32 v[18:19], v[32:33], v[18:19], v[28:29] op_sel:[0,0,1] op_sel_hi:[1,0,0]
	v_pk_mul_f32 v[28:29], v[36:37], v[16:17] op_sel:[0,1]
	v_mov_b32_e32 v31, v19
	v_pk_fma_f32 v[32:33], v[36:37], v[16:17], v[28:29] op_sel:[0,0,1] op_sel_hi:[1,1,0] neg_lo:[0,0,1] neg_hi:[0,0,1]
	v_pk_fma_f32 v[16:17], v[36:37], v[16:17], v[28:29] op_sel:[0,0,1] op_sel_hi:[1,0,0]
	s_waitcnt vmcnt(0) lgkmcnt(0)
	v_pk_mul_f32 v[28:29], v[14:15], v[38:39] op_sel:[0,1]
	v_mov_b32_e32 v33, v17
	v_pk_fma_f32 v[54:55], v[14:15], v[38:39], v[28:29] op_sel:[0,0,1] op_sel_hi:[1,1,0] neg_lo:[0,0,1] neg_hi:[0,0,1]
	v_pk_fma_f32 v[14:15], v[14:15], v[38:39], v[28:29] op_sel:[0,0,1] op_sel_hi:[1,0,0]
	v_pk_mul_f32 v[28:29], v[12:13], v[36:37] op_sel:[0,1]
	ds_read_b64 v[16:17], v3
	v_pk_fma_f32 v[38:39], v[12:13], v[36:37], v[28:29] op_sel:[0,0,1] op_sel_hi:[1,1,0] neg_lo:[0,0,1] neg_hi:[0,0,1]
	v_pk_fma_f32 v[12:13], v[12:13], v[36:37], v[28:29] op_sel:[0,0,1] op_sel_hi:[1,0,0]
	v_mov_b32_e32 v53, v21
	v_mul_i32_i24_e32 v12, 0xa8, v49
	v_add3_u32 v28, 0, v12, v6
	v_mul_i32_i24_e32 v12, 0xa8, v1
	ds_read_b64 v[18:19], v28
	ds_read_b64 v[36:37], v10
	;; [unrolled: 1-line block ×3, first 2 shown]
	v_add3_u32 v29, 0, v12, v6
	v_mul_i32_i24_e32 v12, 0xa8, v34
	v_add3_u32 v41, 0, v12, v6
	s_waitcnt lgkmcnt(3)
	v_pk_add_f32 v[32:33], v[16:17], v[32:33] neg_lo:[0,1] neg_hi:[0,1]
	v_mul_u32_u24_e32 v12, 0xa8, v68
	v_pk_fma_f32 v[16:17], v[16:17], 2.0, v[32:33] op_sel_hi:[1,0,1] neg_lo:[0,0,1] neg_hi:[0,0,1]
	v_add3_u32 v78, 0, v12, v6
	v_and_or_b32 v12, v40, s4, v73
	ds_read_b64 v[58:59], v9
	ds_read_b64 v[60:61], v11
	;; [unrolled: 1-line block ×4, first 2 shown]
	s_waitcnt lgkmcnt(0)
	s_barrier
	ds_write_b64 v78, v[16:17]
	ds_write_b64 v78, v[32:33] offset:2688
	v_mul_u32_u24_e32 v12, 0xa8, v12
	v_pk_add_f32 v[16:17], v[36:37], v[30:31] neg_lo:[0,1] neg_hi:[0,1]
	v_add3_u32 v12, 0, v12, v6
	v_pk_fma_f32 v[30:31], v[36:37], 2.0, v[16:17] op_sel_hi:[1,0,1] neg_lo:[0,0,1] neg_hi:[0,0,1]
	v_lshlrev_b32_e32 v73, 1, v69
	ds_write_b64 v12, v[30:31]
	ds_write_b64 v12, v[16:17] offset:2688
	v_and_or_b32 v12, v75, s4, v67
	v_add3_u32 v36, 0, v8, v6
	v_and_or_b32 v8, v73, s4, v68
	v_mul_u32_u24_e32 v12, 0xa8, v12
	v_pk_add_f32 v[16:17], v[58:59], v[52:53] neg_lo:[0,1] neg_hi:[0,1]
	v_mul_u32_u24_e32 v8, 0xa8, v8
	v_add3_u32 v12, 0, v12, v6
	v_pk_fma_f32 v[20:21], v[58:59], 2.0, v[16:17] op_sel_hi:[1,0,1] neg_lo:[0,0,1] neg_hi:[0,0,1]
	v_add3_u32 v37, 0, v8, v6
	v_lshlrev_b32_e32 v8, 1, v49
	ds_write_b64 v12, v[20:21]
	ds_write_b64 v12, v[16:17] offset:2688
	v_and_or_b32 v12, v8, s4, v77
	v_mul_u32_u24_e32 v12, 0xa8, v12
	v_lshlrev_b32_e32 v53, 1, v1
	v_add3_u32 v52, 0, v12, v6
	v_and_or_b32 v12, v53, s4, v66
	v_mul_u32_u24_e32 v12, 0xa8, v12
	v_lshlrev_b32_e32 v59, 1, v34
	v_mov_b32_e32 v47, v23
	v_add3_u32 v58, 0, v12, v6
	v_and_or_b32 v12, v59, s4, v35
	v_mov_b32_e32 v45, v27
	v_mov_b32_e32 v55, v15
	v_mul_u32_u24_e32 v12, 0xa8, v12
	v_pk_add_f32 v[26:27], v[60:61], v[46:47] neg_lo:[0,1] neg_hi:[0,1]
	v_mov_b32_e32 v39, v13
	v_add3_u32 v35, 0, v12, v6
	v_pk_add_f32 v[14:15], v[64:65], v[42:43] neg_lo:[0,1] neg_hi:[0,1]
	v_pk_add_f32 v[20:21], v[62:63], v[44:45] neg_lo:[0,1] neg_hi:[0,1]
	;; [unrolled: 1-line block ×3, first 2 shown]
	v_pk_fma_f32 v[30:31], v[60:61], 2.0, v[26:27] op_sel_hi:[1,0,1] neg_lo:[0,0,1] neg_hi:[0,0,1]
	v_pk_add_f32 v[12:13], v[56:57], v[38:39] neg_lo:[0,1] neg_hi:[0,1]
	v_and_b32_e32 v44, 31, v34
	v_pk_fma_f32 v[16:17], v[64:65], 2.0, v[14:15] op_sel_hi:[1,0,1] neg_lo:[0,0,1] neg_hi:[0,0,1]
	v_pk_fma_f32 v[22:23], v[62:63], 2.0, v[20:21] op_sel_hi:[1,0,1] neg_lo:[0,0,1] neg_hi:[0,0,1]
	;; [unrolled: 1-line block ×4, first 2 shown]
	ds_write_b64 v36, v[30:31]
	ds_write_b64 v36, v[26:27] offset:2688
	ds_write_b64 v37, v[32:33]
	ds_write_b64 v37, v[12:13] offset:2688
	;; [unrolled: 2-line block ×5, first 2 shown]
	v_lshlrev_b32_e32 v12, 3, v44
	v_and_b32_e32 v1, 31, v1
	s_waitcnt lgkmcnt(0)
	s_barrier
	global_load_dwordx2 v[20:21], v12, s[16:17] offset:224
	v_lshlrev_b32_e32 v12, 3, v1
	v_and_b32_e32 v45, 31, v49
	global_load_dwordx2 v[22:23], v12, s[16:17] offset:224
	v_lshlrev_b32_e32 v12, 3, v45
	v_and_b32_e32 v46, 31, v69
	global_load_dwordx2 v[24:25], v12, s[16:17] offset:224
	v_lshlrev_b32_e32 v12, 3, v46
	global_load_dwordx2 v[26:27], v12, s[16:17] offset:224
	v_and_b32_e32 v47, 31, v72
	v_lshlrev_b32_e32 v12, 3, v47
	global_load_dwordx2 v[30:31], v12, s[16:17] offset:224
	v_and_b32_e32 v52, 31, v71
	;; [unrolled: 3-line block ×3, first 2 shown]
	v_lshlrev_b32_e32 v12, 3, v54
	global_load_dwordx2 v[34:35], v12, s[16:17] offset:224
	global_load_dwordx2 v[36:37], v76, s[16:17] offset:224
	ds_read2_b64 v[12:15], v7 offset1:252
	ds_read2_b64 v[16:19], v82 offset1:252
	s_movk_i32 s4, 0x3fc0
	v_and_or_b32 v7, v59, s4, v44
	v_and_or_b32 v1, v53, s4, v1
	v_mul_u32_u24_e32 v1, 0xa8, v1
	v_add3_u32 v1, 0, v1, v6
	s_waitcnt vmcnt(7) lgkmcnt(1)
	v_pk_mul_f32 v[38:39], v[14:15], v[20:21] op_sel:[0,1]
	s_nop 0
	v_pk_fma_f32 v[42:43], v[14:15], v[20:21], v[38:39] op_sel:[0,0,1] op_sel_hi:[1,1,0] neg_lo:[0,0,1] neg_hi:[0,0,1]
	v_pk_fma_f32 v[14:15], v[14:15], v[20:21], v[38:39] op_sel:[0,0,1] op_sel_hi:[1,0,0]
	s_waitcnt vmcnt(6)
	v_pk_mul_f32 v[20:21], v[12:13], v[22:23] op_sel:[0,1]
	v_mov_b32_e32 v43, v15
	v_pk_fma_f32 v[38:39], v[12:13], v[22:23], v[20:21] op_sel:[0,0,1] op_sel_hi:[1,1,0] neg_lo:[0,0,1] neg_hi:[0,0,1]
	v_pk_fma_f32 v[20:21], v[12:13], v[22:23], v[20:21] op_sel:[0,0,1] op_sel_hi:[1,0,0]
	s_waitcnt vmcnt(5) lgkmcnt(0)
	v_pk_mul_f32 v[12:13], v[18:19], v[24:25] op_sel:[0,1]
	v_mov_b32_e32 v39, v21
	v_pk_fma_f32 v[22:23], v[18:19], v[24:25], v[12:13] op_sel:[0,0,1] op_sel_hi:[1,1,0] neg_lo:[0,0,1] neg_hi:[0,0,1]
	v_pk_fma_f32 v[18:19], v[18:19], v[24:25], v[12:13] op_sel:[0,0,1] op_sel_hi:[1,0,0]
	s_waitcnt vmcnt(4)
	v_pk_mul_f32 v[12:13], v[16:17], v[26:27] op_sel:[0,1]
	v_mov_b32_e32 v23, v19
	v_pk_fma_f32 v[24:25], v[16:17], v[26:27], v[12:13] op_sel:[0,0,1] op_sel_hi:[1,1,0] neg_lo:[0,0,1] neg_hi:[0,0,1]
	v_pk_fma_f32 v[16:17], v[16:17], v[26:27], v[12:13] op_sel:[0,0,1] op_sel_hi:[1,0,0]
	ds_read2_b64 v[12:15], v5 offset1:252
	v_and_or_b32 v5, v40, s4, v54
	v_mul_u32_u24_e32 v5, 0xa8, v5
	v_add3_u32 v44, 0, v5, v6
	v_and_or_b32 v5, v75, s4, v52
	v_mul_u32_u24_e32 v5, 0xa8, v5
	v_add3_u32 v54, 0, v5, v6
	v_and_or_b32 v5, v74, s4, v47
	v_mul_u32_u24_e32 v5, 0xa8, v5
	v_add3_u32 v47, 0, v5, v6
	v_and_or_b32 v5, v73, s4, v46
	v_mul_u32_u24_e32 v5, 0xa8, v5
	v_add3_u32 v46, 0, v5, v6
	v_and_or_b32 v5, v8, s4, v45
	v_mul_u32_u24_e32 v5, 0xa8, v5
	v_add3_u32 v45, 0, v5, v6
	v_mul_u32_u24_e32 v5, 0xa8, v7
	v_add3_u32 v55, 0, v5, v6
	ds_read2_b64 v[4:7], v4 offset1:252
	v_mov_b32_e32 v25, v17
	s_waitcnt vmcnt(3) lgkmcnt(1)
	v_pk_mul_f32 v[16:17], v[30:31], v[14:15] op_sel:[0,1]
	ds_read_b64 v[26:27], v3
	v_pk_fma_f32 v[18:19], v[30:31], v[14:15], v[16:17] op_sel:[0,0,1] op_sel_hi:[1,1,0] neg_lo:[0,0,1] neg_hi:[0,0,1]
	v_pk_fma_f32 v[14:15], v[30:31], v[14:15], v[16:17] op_sel:[0,0,1] op_sel_hi:[1,0,0]
	s_movk_i32 s4, 0x54
	v_mov_b32_e32 v19, v15
	s_waitcnt vmcnt(2)
	v_pk_mul_f32 v[14:15], v[32:33], v[12:13] op_sel:[0,1]
	v_cmp_gt_u32_e64 s[4:5], s4, v0
	v_pk_fma_f32 v[16:17], v[32:33], v[12:13], v[14:15] op_sel:[0,0,1] op_sel_hi:[1,1,0] neg_lo:[0,0,1] neg_hi:[0,0,1]
	v_pk_fma_f32 v[12:13], v[32:33], v[12:13], v[14:15] op_sel:[0,0,1] op_sel_hi:[1,0,0]
	s_waitcnt vmcnt(1) lgkmcnt(1)
	v_pk_mul_f32 v[14:15], v[34:35], v[6:7] op_sel:[0,1]
	v_mov_b32_e32 v17, v13
	v_pk_fma_f32 v[20:21], v[34:35], v[6:7], v[14:15] op_sel:[0,0,1] op_sel_hi:[1,1,0] neg_lo:[0,0,1] neg_hi:[0,0,1]
	v_pk_fma_f32 v[6:7], v[34:35], v[6:7], v[14:15] op_sel:[0,0,1] op_sel_hi:[1,0,0]
	s_waitcnt vmcnt(0)
	v_pk_mul_f32 v[14:15], v[36:37], v[4:5] op_sel:[0,1]
	v_mov_b32_e32 v21, v7
	v_pk_fma_f32 v[30:31], v[36:37], v[4:5], v[14:15] op_sel:[0,0,1] op_sel_hi:[1,1,0] neg_lo:[0,0,1] neg_hi:[0,0,1]
	v_pk_fma_f32 v[4:5], v[36:37], v[4:5], v[14:15] op_sel:[0,0,1] op_sel_hi:[1,0,0]
	ds_read_b64 v[14:15], v9
	ds_read_b64 v[32:33], v11
	;; [unrolled: 1-line block ×4, first 2 shown]
	v_mov_b32_e32 v31, v5
	ds_read_b64 v[4:5], v10
	ds_read_b64 v[6:7], v2
	;; [unrolled: 1-line block ×3, first 2 shown]
	s_waitcnt lgkmcnt(7)
	v_pk_add_f32 v[30:31], v[26:27], v[30:31] neg_lo:[0,1] neg_hi:[0,1]
	s_waitcnt lgkmcnt(4)
	v_pk_add_f32 v[38:39], v[34:35], v[38:39] neg_lo:[0,1] neg_hi:[0,1]
	;; [unrolled: 2-line block ×5, first 2 shown]
	v_pk_add_f32 v[18:19], v[32:33], v[18:19] neg_lo:[0,1] neg_hi:[0,1]
	v_pk_add_f32 v[16:17], v[14:15], v[16:17] neg_lo:[0,1] neg_hi:[0,1]
	;; [unrolled: 1-line block ×3, first 2 shown]
	v_pk_fma_f32 v[26:27], v[26:27], 2.0, v[30:31] op_sel_hi:[1,0,1] neg_lo:[0,0,1] neg_hi:[0,0,1]
	v_pk_fma_f32 v[36:37], v[36:37], 2.0, v[52:53] op_sel_hi:[1,0,1] neg_lo:[0,0,1] neg_hi:[0,0,1]
	;; [unrolled: 1-line block ×8, first 2 shown]
	s_barrier
	ds_write_b64 v78, v[26:27]
	ds_write_b64 v78, v[30:31] offset:5376
	ds_write_b64 v44, v[4:5]
	ds_write_b64 v44, v[20:21] offset:5376
	;; [unrolled: 2-line block ×8, first 2 shown]
	v_add_u32_e32 v1, 0x5400, v3
	s_waitcnt lgkmcnt(0)
	s_barrier
	ds_read2_b64 v[12:15], v1 offset1:252
	v_add_u32_e32 v1, 0x31e0, v3
	ds_read2_b64 v[16:19], v1 offset1:252
	v_add_u32_e32 v1, 0x63c0, v3
	ds_read2st64_b64 v[4:7], v3 offset1:21
	ds_read2_b64 v[20:23], v1 offset1:252
	ds_read_b64 v[56:57], v11
	v_add_u32_e32 v1, 0x41a0, v3
	ds_read2_b64 v[24:27], v1 offset1:252
	ds_read_b64 v[58:59], v9
	ds_read_b64 v[60:61], v10
	;; [unrolled: 1-line block ×3, first 2 shown]
	ds_read_b64 v[62:63], v3 offset:29568
	v_lshlrev_b32_e32 v9, 1, v68
                                        ; implicit-def: $vgpr2
	s_and_saveexec_b64 s[18:19], s[4:5]
	s_cbranch_execz .LBB0_16
; %bb.15:
	v_add_u32_e32 v0, 0x160, v3
	ds_read_b64 v[52:53], v28
	ds_read2st64_b64 v[0:3], v0 offset0:40 offset1:61
.LBB0_16:
	s_or_b64 exec, exec, s[18:19]
	v_and_b32_e32 v10, 0x7e, v73
	v_lshlrev_b32_e32 v10, 3, v10
	v_lshlrev_b32_e32 v9, 3, v9
	global_load_dwordx4 v[36:39], v10, s[16:17] offset:480
	global_load_dwordx4 v[44:47], v9, s[16:17] offset:480
	v_and_b32_e32 v10, 0x7e, v74
	v_lshlrev_b32_e32 v10, 3, v10
	global_load_dwordx4 v[32:35], v10, s[16:17] offset:480
	v_and_b32_e32 v10, 0x7e, v75
	s_load_dwordx2 s[0:1], s[0:1], 0x8
	v_lshlrev_b32_e32 v10, 3, v10
	global_load_dwordx4 v[28:31], v10, s[16:17] offset:480
	v_and_b32_e32 v10, 0x7e, v40
	v_lshlrev_b32_e32 v10, 3, v10
	v_mul_lo_u32 v81, v50, v68
	v_mov_b32_e32 v80, 3
	v_or_b32_e32 v78, 64, v68
	global_load_dwordx4 v[40:43], v10, s[16:17] offset:480
	v_or_b32_e32 v77, 0x80, v68
	v_lshlrev_b32_sdwa v9, v80, v81 dst_sel:DWORD dst_unused:UNUSED_PAD src0_sel:DWORD src1_sel:BYTE_0
	v_mul_lo_u32 v95, v50, v78
	v_lshlrev_b32_sdwa v10, v80, v81 dst_sel:DWORD dst_unused:UNUSED_PAD src0_sel:DWORD src1_sel:BYTE_1
	s_waitcnt lgkmcnt(0)
	global_load_dwordx2 v[64:65], v9, s[0:1]
	global_load_dwordx2 v[66:67], v10, s[0:1] offset:2048
	v_mul_lo_u32 v96, v50, v77
	v_lshlrev_b32_sdwa v9, v80, v95 dst_sel:DWORD dst_unused:UNUSED_PAD src0_sel:DWORD src1_sel:BYTE_0
	v_mul_lo_u32 v94, v50, v70
	v_and_b32_e32 v8, 0x7e, v8
	v_lshlrev_b32_sdwa v10, v80, v95 dst_sel:DWORD dst_unused:UNUSED_PAD src0_sel:DWORD src1_sel:BYTE_1
	global_load_dwordx2 v[82:83], v9, s[0:1]
	global_load_dwordx2 v[84:85], v10, s[0:1] offset:2048
	v_lshlrev_b32_sdwa v9, v80, v96 dst_sel:DWORD dst_unused:UNUSED_PAD src0_sel:DWORD src1_sel:BYTE_0
	v_lshlrev_b32_sdwa v10, v80, v96 dst_sel:DWORD dst_unused:UNUSED_PAD src0_sel:DWORD src1_sel:BYTE_1
	global_load_dwordx2 v[86:87], v9, s[0:1]
	global_load_dwordx2 v[88:89], v10, s[0:1] offset:2048
	v_lshlrev_b32_sdwa v79, v80, v94 dst_sel:DWORD dst_unused:UNUSED_PAD src0_sel:DWORD src1_sel:BYTE_0
	v_lshlrev_b32_sdwa v97, v80, v94 dst_sel:DWORD dst_unused:UNUSED_PAD src0_sel:DWORD src1_sel:BYTE_1
	v_lshlrev_b32_e32 v99, 3, v8
	v_or_b32_e32 v76, 64, v70
	global_load_dwordx4 v[8:11], v99, s[16:17] offset:480
	global_load_dwordx2 v[90:91], v79, s[0:1]
	global_load_dwordx2 v[92:93], v97, s[0:1] offset:2048
	v_mul_lo_u32 v98, v50, v76
	s_andn2_b64 vcc, exec, s[2:3]
	s_waitcnt vmcnt(13)
	v_mul_f32_e32 v79, v63, v39
	v_mul_f32_e32 v97, v62, v39
	v_fma_f32 v62, v62, v38, -v79
	v_fmac_f32_e32 v97, v63, v38
	v_mul_f32_e32 v38, v27, v37
	v_mul_f32_e32 v99, v26, v37
	v_fma_f32 v63, v26, v36, -v38
	v_fmac_f32_e32 v99, v27, v36
	v_lshlrev_b32_sdwa v26, v80, v98 dst_sel:DWORD dst_unused:UNUSED_PAD src0_sel:DWORD src1_sel:BYTE_0
	s_waitcnt vmcnt(11)
	v_mul_f32_e32 v36, v33, v25
	v_mul_f32_e32 v100, v33, v24
	v_lshlrev_b32_sdwa v27, v80, v98 dst_sel:DWORD dst_unused:UNUSED_PAD src0_sel:DWORD src1_sel:BYTE_1
	v_fma_f32 v101, v32, v24, -v36
	v_fmac_f32_e32 v100, v32, v25
	global_load_dwordx2 v[24:25], v26, s[0:1]
	global_load_dwordx2 v[32:33], v27, s[0:1] offset:2048
	v_mul_f32_e32 v26, v23, v35
	v_mul_f32_e32 v27, v22, v35
	v_or_b32_e32 v79, 0x80, v70
	v_fma_f32 v102, v22, v34, -v26
	v_fmac_f32_e32 v27, v23, v34
	v_mul_lo_u32 v34, v50, v79
	s_waitcnt vmcnt(12)
	v_mul_f32_e32 v22, v31, v21
	v_mul_f32_e32 v103, v31, v20
	v_fma_f32 v104, v30, v20, -v22
	v_lshlrev_b32_sdwa v20, v80, v34 dst_sel:DWORD dst_unused:UNUSED_PAD src0_sel:DWORD src1_sel:BYTE_0
	v_mul_f32_e32 v22, v29, v19
	v_mul_f32_e32 v105, v29, v18
	v_fma_f32 v106, v28, v18, -v22
	v_fmac_f32_e32 v105, v28, v19
	global_load_dwordx2 v[18:19], v20, s[0:1]
	s_waitcnt vmcnt(12)
	v_mul_f32_e32 v20, v41, v17
	v_mul_f32_e32 v38, v41, v16
	;; [unrolled: 1-line block ×3, first 2 shown]
	v_fma_f32 v39, v40, v16, -v20
	v_mul_f32_e32 v43, v43, v14
	v_mul_f32_e32 v16, v47, v13
	v_fmac_f32_e32 v38, v40, v17
	v_fma_f32 v107, v42, v14, -v22
	v_fmac_f32_e32 v43, v42, v15
	v_mul_f32_e32 v40, v47, v12
	v_fma_f32 v41, v46, v12, -v16
	v_mul_f32_e32 v12, v45, v7
	v_mul_f32_e32 v42, v45, v6
	s_waitcnt vmcnt(8)
	v_mul_f32_e32 v16, v83, v85
	v_fma_f32 v45, v44, v6, -v12
	v_fmac_f32_e32 v42, v44, v7
	v_mul_f32_e32 v44, v64, v67
	v_fma_f32 v47, v82, v84, -v16
	s_waitcnt vmcnt(6)
	v_mul_f32_e32 v16, v87, v89
	v_mov_b32_e32 v26, 0x1000
	v_mul_f32_e32 v12, v65, v67
	v_fmac_f32_e32 v44, v65, v66
	v_fma_f32 v65, v86, v88, -v16
	v_bfe_u32 v16, v96, 16, 8
	v_fmac_f32_e32 v103, v30, v21
	v_lshlrev_b32_sdwa v21, v80, v34 dst_sel:DWORD dst_unused:UNUSED_PAD src0_sel:DWORD src1_sel:BYTE_1
	v_fmac_f32_e32 v40, v46, v13
	v_bfe_u32 v6, v81, 16, 8
	v_fma_f32 v46, v64, v66, -v12
	v_bfe_u32 v12, v95, 16, 8
	v_lshl_or_b32 v22, v16, 3, v26
	v_bfe_u32 v16, v94, 16, 8
	v_and_b32_e32 v36, 63, v71
	global_load_dwordx2 v[14:15], v21, s[0:1] offset:2048
	v_lshl_or_b32 v6, v6, 3, v26
	v_lshl_or_b32 v12, v12, 3, v26
	global_load_dwordx2 v[12:13], v12, s[0:1]
	v_lshl_or_b32 v23, v16, 3, v26
	v_mul_lo_u32 v37, v50, v36
	global_load_dwordx2 v[6:7], v6, s[0:1]
	v_mul_f32_e32 v64, v82, v85
	global_load_dwordx2 v[16:17], v23, s[0:1]
	global_load_dwordx2 v[20:21], v22, s[0:1]
	s_waitcnt vmcnt(8)
	v_mul_f32_e32 v22, v91, v93
	v_lshlrev_b32_sdwa v30, v80, v37 dst_sel:DWORD dst_unused:UNUSED_PAD src0_sel:DWORD src1_sel:BYTE_0
	v_fmac_f32_e32 v64, v83, v84
	v_fma_f32 v67, v90, v92, -v22
	v_lshlrev_b32_sdwa v31, v80, v37 dst_sel:DWORD dst_unused:UNUSED_PAD src0_sel:DWORD src1_sel:BYTE_1
	global_load_dwordx2 v[22:23], v30, s[0:1]
	global_load_dwordx2 v[28:29], v31, s[0:1] offset:2048
	v_bfe_u32 v30, v98, 16, 8
	v_lshl_or_b32 v30, v30, 3, v26
	global_load_dwordx2 v[30:31], v30, s[0:1]
	v_mul_f32_e32 v66, v86, v89
	v_mul_f32_e32 v81, v90, v93
	v_bfe_u32 v34, v34, 16, 8
	v_lshl_or_b32 v34, v34, 3, v26
	v_fmac_f32_e32 v66, v87, v88
	v_fmac_f32_e32 v81, v91, v92
	v_and_b32_e32 v92, 63, v72
	v_add_f32_e32 v96, v4, v45
	v_add_f32_e32 v98, v5, v42
	s_waitcnt vmcnt(9)
	v_mul_f32_e32 v35, v25, v33
	v_fma_f32 v82, v24, v32, -v35
	v_mul_f32_e32 v83, v24, v33
	v_or_b32_e32 v24, 64, v36
	v_mul_lo_u32 v84, v50, v24
	v_lshlrev_b32_sdwa v35, v80, v84 dst_sel:DWORD dst_unused:UNUSED_PAD src0_sel:DWORD src1_sel:BYTE_0
	v_fmac_f32_e32 v83, v25, v32
	v_lshlrev_b32_sdwa v85, v80, v84 dst_sel:DWORD dst_unused:UNUSED_PAD src0_sel:DWORD src1_sel:BYTE_1
	global_load_dwordx2 v[24:25], v35, s[0:1]
	global_load_dwordx2 v[32:33], v85, s[0:1] offset:2048
	s_waitcnt vmcnt(9)
	v_mul_f32_e32 v85, v19, v15
	v_mul_f32_e32 v86, v18, v15
	v_fma_f32 v85, v18, v14, -v85
	v_fmac_f32_e32 v86, v19, v14
	v_or_b32_e32 v14, 0x80, v36
	v_mul_lo_u32 v36, v50, v14
	v_bfe_u32 v15, v37, 16, 8
	global_load_dwordx2 v[34:35], v34, s[0:1]
	v_lshlrev_b32_sdwa v87, v80, v36 dst_sel:DWORD dst_unused:UNUSED_PAD src0_sel:DWORD src1_sel:BYTE_0
	v_lshlrev_b32_sdwa v88, v80, v36 dst_sel:DWORD dst_unused:UNUSED_PAD src0_sel:DWORD src1_sel:BYTE_1
	s_waitcnt vmcnt(4)
	v_mul_f32_e32 v14, v23, v29
	v_fma_f32 v89, v22, v28, -v14
	v_mul_f32_e32 v90, v22, v29
	v_bfe_u32 v14, v84, 16, 8
	v_fmac_f32_e32 v90, v23, v28
	v_lshl_or_b32 v22, v15, 3, v26
	v_lshl_or_b32 v23, v14, 3, v26
	global_load_dwordx2 v[14:15], v23, s[0:1]
	global_load_dwordx2 v[18:19], v22, s[0:1]
	v_bfe_u32 v28, v36, 16, 8
	v_lshl_or_b32 v28, v28, 3, v26
	s_waitcnt vmcnt(3)
	v_mul_f32_e32 v22, v25, v33
	v_mul_f32_e32 v91, v24, v33
	v_fma_f32 v84, v24, v32, -v22
	v_fmac_f32_e32 v91, v25, v32
	global_load_dwordx2 v[22:23], v87, s[0:1]
	global_load_dwordx2 v[24:25], v88, s[0:1] offset:2048
	s_waitcnt vmcnt(0)
	v_mul_f32_e32 v32, v23, v25
	v_fma_f32 v87, v22, v24, -v32
	v_mul_f32_e32 v88, v22, v25
	v_mul_lo_u32 v22, v50, v92
	v_lshlrev_b32_sdwa v32, v80, v22 dst_sel:DWORD dst_unused:UNUSED_PAD src0_sel:DWORD src1_sel:BYTE_0
	v_lshlrev_b32_sdwa v33, v80, v22 dst_sel:DWORD dst_unused:UNUSED_PAD src0_sel:DWORD src1_sel:BYTE_1
	v_bfe_u32 v22, v22, 16, 8
	v_lshl_or_b32 v93, v22, 3, v26
	v_or_b32_e32 v22, 64, v92
	global_load_dwordx2 v[28:29], v28, s[0:1]
	v_fmac_f32_e32 v88, v23, v24
	v_mul_lo_u32 v94, v50, v22
	global_load_dwordx2 v[22:23], v32, s[0:1]
	global_load_dwordx2 v[24:25], v33, s[0:1] offset:2048
	v_lshlrev_b32_sdwa v95, v80, v94 dst_sel:DWORD dst_unused:UNUSED_PAD src0_sel:DWORD src1_sel:BYTE_1
	global_load_dwordx2 v[32:33], v95, s[0:1] offset:2048
	global_load_dwordx2 v[36:37], v93, s[0:1]
	s_waitcnt vmcnt(2)
	v_mul_f32_e32 v93, v23, v25
	v_fma_f32 v93, v22, v24, -v93
	v_mul_f32_e32 v95, v22, v25
	v_add_f32_e32 v22, v45, v41
	v_fma_f32 v22, -0.5, v22, v4
	v_mul_f32_e32 v4, v44, v7
	v_fma_f32 v108, v6, v46, -v4
	v_mul_f32_e32 v7, v46, v7
	v_mul_f32_e32 v4, v64, v13
	v_fmac_f32_e32 v7, v6, v44
	v_fma_f32 v44, v12, v47, -v4
	v_mul_f32_e32 v13, v47, v13
	v_mul_f32_e32 v4, v66, v21
	v_fmac_f32_e32 v13, v12, v64
	;; [unrolled: 4-line block ×3, first 2 shown]
	v_fma_f32 v20, v16, v67, -v4
	v_lshlrev_b32_sdwa v4, v80, v94 dst_sel:DWORD dst_unused:UNUSED_PAD src0_sel:DWORD src1_sel:BYTE_0
	v_fmac_f32_e32 v95, v23, v24
	global_load_dwordx2 v[24:25], v4, s[0:1]
	v_mul_f32_e32 v4, v83, v31
	v_add_f32_e32 v23, v42, v40
	v_fma_f32 v47, v30, v82, -v4
	v_mul_f32_e32 v4, v86, v35
	v_fma_f32 v23, -0.5, v23, v5
	v_fma_f32 v6, v34, v85, -v4
	v_mul_f32_e32 v5, v85, v35
	v_mul_f32_e32 v4, v90, v19
	v_fmac_f32_e32 v5, v34, v86
	v_fma_f32 v34, v18, v89, -v4
	v_mul_f32_e32 v4, v91, v15
	v_fma_f32 v65, v14, v84, -v4
	v_mul_f32_e32 v4, v88, v29
	v_mul_f32_e32 v46, v67, v17
	v_mul_f32_e32 v66, v84, v15
	v_fma_f32 v67, v28, v87, -v4
	v_add_f32_e32 v4, v39, v107
	v_fmac_f32_e32 v66, v14, v91
	v_mul_f32_e32 v29, v87, v29
	v_fma_f32 v14, -0.5, v4, v60
	v_sub_f32_e32 v4, v38, v43
	v_fmac_f32_e32 v29, v28, v88
	v_fmamk_f32 v28, v4, 0x3f5db3d7, v14
	v_fmac_f32_e32 v14, 0xbf5db3d7, v4
	v_add_f32_e32 v4, v38, v43
	v_add_f32_e32 v15, v61, v38
	v_fmac_f32_e32 v61, -0.5, v4
	v_sub_f32_e32 v4, v39, v107
	v_fmac_f32_e32 v46, v16, v81
	v_fmamk_f32 v81, v4, 0xbf5db3d7, v61
	v_fmac_f32_e32 v61, 0x3f5db3d7, v4
	v_mul_f32_e32 v4, v61, v5
	v_mul_f32_e32 v5, v14, v5
	v_add_f32_e32 v16, v96, v41
	v_add_f32_e32 v17, v98, v40
	v_fma_f32 v4, v14, v6, -v4
	v_fmac_f32_e32 v5, v61, v6
	v_mul_f32_e32 v6, v17, v7
	v_mul_f32_e32 v7, v16, v7
	;; [unrolled: 1-line block ×3, first 2 shown]
	v_fmac_f32_e32 v7, v17, v108
	v_sub_f32_e32 v17, v45, v41
	v_fmac_f32_e32 v64, v30, v83
	v_mul_f32_e32 v35, v89, v19
	v_fma_f32 v6, v16, v108, -v6
	v_sub_f32_e32 v16, v42, v40
	v_fmamk_f32 v42, v17, 0xbf5db3d7, v23
	v_bfe_u32 v30, v94, 16, 8
	v_fmac_f32_e32 v35, v18, v90
	v_fmamk_f32 v19, v16, 0x3f5db3d7, v22
	v_mul_f32_e32 v18, v42, v13
	v_lshl_or_b32 v30, v30, 3, v26
	v_or_b32_e32 v31, 0x80, v92
	v_fmac_f32_e32 v22, 0xbf5db3d7, v16
	v_fmac_f32_e32 v23, 0x3f5db3d7, v17
	v_add_f32_e32 v14, v60, v39
	v_mul_lo_u32 v45, v50, v31
	global_load_dwordx2 v[30:31], v30, s[0:1]
	v_fma_f32 v18, v19, v44, -v18
	v_mul_f32_e32 v19, v19, v13
	v_mul_f32_e32 v13, v23, v21
	;; [unrolled: 1-line block ×3, first 2 shown]
	v_fma_f32 v16, v22, v12, -v13
	v_fmac_f32_e32 v17, v23, v12
	v_add_f32_e32 v12, v14, v107
	v_lshlrev_b32_sdwa v60, v80, v45 dst_sel:DWORD dst_unused:UNUSED_PAD src0_sel:DWORD src1_sel:BYTE_0
	v_add_f32_e32 v13, v15, v43
	v_mul_f32_e32 v15, v12, v46
	v_lshlrev_b32_sdwa v61, v80, v45 dst_sel:DWORD dst_unused:UNUSED_PAD src0_sel:DWORD src1_sel:BYTE_1
	global_load_dwordx2 v[38:39], v60, s[0:1]
	global_load_dwordx2 v[40:41], v61, s[0:1] offset:2048
	v_mul_f32_e32 v14, v13, v46
	v_fmac_f32_e32 v15, v13, v20
	v_bfe_u32 v13, v45, 16, 8
	v_lshl_or_b32 v13, v13, 3, v26
	v_fmac_f32_e32 v19, v42, v44
	global_load_dwordx2 v[42:43], v13, s[0:1]
	v_fma_f32 v14, v12, v20, -v14
	v_add_f32_e32 v20, v58, v106
	v_and_b32_e32 v44, 63, v69
	v_mul_f32_e32 v12, v81, v64
	v_add_f32_e32 v21, v20, v104
	v_add_f32_e32 v20, v59, v105
	v_mul_lo_u32 v22, v50, v44
	v_fma_f32 v12, v28, v47, -v12
	v_mul_f32_e32 v13, v28, v64
	v_add_f32_e32 v28, v20, v103
	v_lshlrev_b32_sdwa v45, v80, v22 dst_sel:DWORD dst_unused:UNUSED_PAD src0_sel:DWORD src1_sel:BYTE_0
	v_lshlrev_b32_sdwa v46, v80, v22 dst_sel:DWORD dst_unused:UNUSED_PAD src0_sel:DWORD src1_sel:BYTE_1
	v_add_f32_e32 v23, v106, v104
	v_bfe_u32 v22, v22, 16, 8
	v_fmac_f32_e32 v13, v81, v47
	v_mul_f32_e32 v20, v28, v35
	v_lshl_or_b32 v47, v22, 3, v26
	v_fma_f32 v23, -0.5, v23, v58
	v_sub_f32_e32 v22, v105, v103
	v_fma_f32 v20, v21, v34, -v20
	v_mul_f32_e32 v21, v21, v35
	v_fmamk_f32 v35, v22, 0x3f5db3d7, v23
	v_fmac_f32_e32 v23, 0xbf5db3d7, v22
	v_add_f32_e32 v22, v105, v103
	v_fmac_f32_e32 v59, -0.5, v22
	v_sub_f32_e32 v22, v106, v104
	v_fmamk_f32 v58, v22, 0xbf5db3d7, v59
	v_fmac_f32_e32 v59, 0x3f5db3d7, v22
	v_mul_f32_e32 v22, v59, v29
	v_fma_f32 v22, v23, v67, -v22
	v_mul_f32_e32 v23, v23, v29
	s_waitcnt vmcnt(4)
	v_mul_f32_e32 v29, v25, v33
	v_fmac_f32_e32 v23, v59, v67
	v_fma_f32 v59, v24, v32, -v29
	v_mul_f32_e32 v24, v24, v33
	v_fmac_f32_e32 v21, v28, v34
	v_add_f32_e32 v28, v101, v102
	v_fmac_f32_e32 v24, v25, v32
	v_fma_f32 v32, -0.5, v28, v56
	v_sub_f32_e32 v28, v100, v27
	v_mul_f32_e32 v25, v58, v66
	v_fmamk_f32 v33, v28, 0x3f5db3d7, v32
	v_fmac_f32_e32 v32, 0xbf5db3d7, v28
	v_add_f32_e32 v28, v57, v100
	v_mul_f32_e32 v29, v93, v37
	v_fma_f32 v34, v35, v65, -v25
	v_mul_f32_e32 v35, v35, v66
	v_add_f32_e32 v25, v56, v101
	v_add_f32_e32 v56, v28, v27
	v_mul_f32_e32 v28, v95, v37
	v_fmac_f32_e32 v29, v36, v95
	v_add_f32_e32 v25, v25, v102
	v_fmac_f32_e32 v35, v58, v65
	v_fma_f32 v58, v36, v93, -v28
	v_mul_f32_e32 v28, v56, v29
	v_add_f32_e32 v27, v100, v27
	v_fma_f32 v28, v25, v58, -v28
	v_mul_f32_e32 v29, v25, v29
	v_fmac_f32_e32 v57, -0.5, v27
	v_sub_f32_e32 v27, v101, v102
	v_fmamk_f32 v94, v27, 0xbf5db3d7, v57
	s_waitcnt vmcnt(3)
	v_mul_f32_e32 v25, v24, v31
	v_fma_f32 v81, v30, v59, -v25
	v_mul_f32_e32 v25, v59, v31
	v_fmac_f32_e32 v25, v30, v24
	v_fmac_f32_e32 v57, 0x3f5db3d7, v27
	v_add_f32_e32 v27, v63, v62
	v_fma_f32 v95, -0.5, v27, v54
	v_mul_f32_e32 v27, v94, v25
	global_load_dwordx2 v[60:61], v45, s[0:1]
	global_load_dwordx2 v[64:65], v46, s[0:1] offset:2048
	v_fmac_f32_e32 v29, v56, v58
	v_add_f32_e32 v56, v99, v97
	global_load_dwordx2 v[66:67], v47, s[0:1]
	s_waitcnt vmcnt(4)
	v_mul_f32_e32 v24, v39, v41
	v_mul_f32_e32 v30, v38, v41
	;; [unrolled: 1-line block ×3, first 2 shown]
	v_sub_f32_e32 v25, v99, v97
	v_fmac_f32_e32 v30, v39, v40
	v_fmamk_f32 v96, v25, 0x3f5db3d7, v95
	v_fmac_f32_e32 v95, 0xbf5db3d7, v25
	v_add_f32_e32 v25, v55, v99
	v_fma_f32 v24, v38, v40, -v24
	v_add_f32_e32 v98, v25, v97
	s_waitcnt vmcnt(3)
	v_mul_f32_e32 v25, v30, v43
	v_fma_f32 v97, v42, v24, -v25
	v_mul_f32_e32 v24, v24, v43
	v_fmac_f32_e32 v24, v42, v30
	v_mul_f32_e32 v25, v57, v24
	v_mul_f32_e32 v43, v32, v24
	v_or_b32_e32 v24, 64, v44
	v_mul_lo_u32 v24, v50, v24
	v_fma_f32 v42, v32, v97, -v25
	v_lshlrev_b32_sdwa v25, v80, v24 dst_sel:DWORD dst_unused:UNUSED_PAD src0_sel:DWORD src1_sel:BYTE_0
	global_load_dwordx2 v[82:83], v25, s[0:1]
	v_fma_f32 v40, v33, v81, -v27
	v_or_b32_e32 v27, 0x80, v44
	v_lshlrev_b32_sdwa v25, v80, v24 dst_sel:DWORD dst_unused:UNUSED_PAD src0_sel:DWORD src1_sel:BYTE_1
	v_bfe_u32 v24, v24, 16, 8
	v_mul_lo_u32 v27, v50, v27
	v_lshl_or_b32 v24, v24, 3, v26
	v_lshlrev_b32_sdwa v30, v80, v27 dst_sel:DWORD dst_unused:UNUSED_PAD src0_sel:DWORD src1_sel:BYTE_0
	v_lshlrev_b32_sdwa v31, v80, v27 dst_sel:DWORD dst_unused:UNUSED_PAD src0_sel:DWORD src1_sel:BYTE_1
	global_load_dwordx2 v[84:85], v25, s[0:1] offset:2048
	global_load_dwordx2 v[86:87], v24, s[0:1]
	global_load_dwordx2 v[88:89], v30, s[0:1]
	global_load_dwordx2 v[90:91], v31, s[0:1] offset:2048
	v_and_b32_e32 v25, 63, v49
	v_bfe_u32 v24, v27, 16, 8
	v_mul_lo_u32 v27, v50, v25
	v_lshl_or_b32 v24, v24, 3, v26
	v_lshlrev_b32_sdwa v30, v80, v27 dst_sel:DWORD dst_unused:UNUSED_PAD src0_sel:DWORD src1_sel:BYTE_0
	v_lshlrev_b32_sdwa v31, v80, v27 dst_sel:DWORD dst_unused:UNUSED_PAD src0_sel:DWORD src1_sel:BYTE_1
	v_bfe_u32 v27, v27, 16, 8
	v_lshl_or_b32 v27, v27, 3, v26
	global_load_dwordx2 v[92:93], v24, s[0:1]
	global_load_dwordx2 v[46:47], v30, s[0:1]
	global_load_dwordx2 v[58:59], v31, s[0:1] offset:2048
	global_load_dwordx2 v[44:45], v27, s[0:1]
	v_or_b32_e32 v24, 64, v25
	v_mul_lo_u32 v24, v50, v24
	v_lshlrev_b32_sdwa v27, v80, v24 dst_sel:DWORD dst_unused:UNUSED_PAD src0_sel:DWORD src1_sel:BYTE_0
	v_lshlrev_b32_sdwa v32, v80, v24 dst_sel:DWORD dst_unused:UNUSED_PAD src0_sel:DWORD src1_sel:BYTE_1
	v_bfe_u32 v24, v24, 16, 8
	v_lshl_or_b32 v33, v24, 3, v26
	v_or_b32_e32 v24, 0x80, v25
	v_mul_lo_u32 v99, v50, v24
	v_lshlrev_b32_sdwa v100, v80, v99 dst_sel:DWORD dst_unused:UNUSED_PAD src0_sel:DWORD src1_sel:BYTE_0
	global_load_dwordx2 v[36:37], v27, s[0:1]
	global_load_dwordx2 v[38:39], v32, s[0:1] offset:2048
	global_load_dwordx2 v[30:31], v33, s[0:1]
	global_load_dwordx2 v[24:25], v100, s[0:1]
	v_lshlrev_b32_sdwa v80, v80, v99 dst_sel:DWORD dst_unused:UNUSED_PAD src0_sel:DWORD src1_sel:BYTE_1
	v_bfe_u32 v27, v99, 16, 8
	v_lshl_or_b32 v99, v27, 3, v26
	global_load_dwordx2 v[32:33], v80, s[0:1] offset:2048
	global_load_dwordx2 v[26:27], v99, s[0:1]
	v_fmac_f32_e32 v43, v57, v97
	v_fmac_f32_e32 v55, -0.5, v56
	v_add_f32_e32 v54, v54, v63
	v_sub_f32_e32 v56, v63, v62
	v_add_f32_e32 v54, v54, v62
	v_fmamk_f32 v62, v56, 0xbf5db3d7, v55
	v_fmac_f32_e32 v55, 0x3f5db3d7, v56
	v_fmac_f32_e32 v41, v94, v81
	s_movk_i32 s0, 0x80
	s_waitcnt vmcnt(16)
	v_mul_f32_e32 v57, v61, v65
	v_fma_f32 v57, v60, v64, -v57
	v_mul_f32_e32 v60, v60, v65
	v_fmac_f32_e32 v60, v61, v64
	s_waitcnt vmcnt(15)
	v_mul_f32_e32 v61, v60, v67
	v_fma_f32 v61, v66, v57, -v61
	v_mul_f32_e32 v57, v57, v67
	v_fmac_f32_e32 v57, v66, v60
	v_mul_f32_e32 v56, v98, v57
	v_fma_f32 v56, v54, v61, -v56
	v_mul_f32_e32 v57, v54, v57
	v_fmac_f32_e32 v57, v98, v61
	s_waitcnt vmcnt(13)
	v_mul_f32_e32 v60, v82, v85
	v_mul_f32_e32 v54, v83, v85
	v_fmac_f32_e32 v60, v83, v84
	v_fma_f32 v54, v82, v84, -v54
	s_waitcnt vmcnt(12)
	v_mul_f32_e32 v61, v60, v87
	v_fma_f32 v63, v86, v54, -v61
	v_mul_f32_e32 v54, v54, v87
	v_fmac_f32_e32 v54, v86, v60
	v_mul_f32_e32 v61, v96, v54
	v_mul_f32_e32 v60, v62, v54
	v_fmac_f32_e32 v61, v62, v63
	s_waitcnt vmcnt(10)
	v_mul_f32_e32 v62, v88, v91
	v_mul_f32_e32 v54, v89, v91
	v_fmac_f32_e32 v62, v89, v90
	v_fma_f32 v60, v96, v63, -v60
	v_fma_f32 v54, v88, v90, -v54
	s_waitcnt vmcnt(9)
	v_mul_f32_e32 v63, v62, v93
	v_fma_f32 v64, v92, v54, -v63
	v_mul_f32_e32 v54, v54, v93
	v_fmac_f32_e32 v54, v92, v62
	v_mul_f32_e32 v62, v55, v54
	v_mul_f32_e32 v63, v95, v54
	v_fma_f32 v62, v95, v64, -v62
	v_fmac_f32_e32 v63, v55, v64
	s_cbranch_vccnz .LBB0_18
; %bb.17:
	v_mad_u64_u32 v[54:55], s[2:3], s12, v48, 0
	v_mov_b32_e32 v64, v55
	v_mad_u64_u32 v[64:65], s[2:3], s13, v48, v[64:65]
	v_mov_b32_e32 v55, v64
	;; [unrolled: 2-line block ×3, first 2 shown]
	v_mad_u64_u32 v[66:67], s[2:3], s9, v68, v[66:67]
	s_lshl_b64 s[2:3], s[6:7], 3
	s_add_u32 s2, s14, s2
	s_addc_u32 s3, s15, s3
	v_mov_b32_e32 v65, v66
	v_lshl_add_u64 v[54:55], v[54:55], 3, s[2:3]
	v_lshl_add_u64 v[64:65], v[64:65], 3, v[54:55]
	global_store_dwordx2 v[64:65], v[6:7], off
	v_mad_u64_u32 v[64:65], s[2:3], s8, v78, 0
	v_mov_b32_e32 v66, v65
	v_mad_u64_u32 v[66:67], s[2:3], s9, v78, v[66:67]
	v_mov_b32_e32 v65, v66
	v_lshl_add_u64 v[64:65], v[64:65], 3, v[54:55]
	global_store_dwordx2 v[64:65], v[18:19], off
	v_mad_u64_u32 v[64:65], s[2:3], s8, v77, 0
	v_mov_b32_e32 v66, v65
	v_mad_u64_u32 v[66:67], s[2:3], s9, v77, v[66:67]
	v_mov_b32_e32 v65, v66
	;; [unrolled: 6-line block ×5, first 2 shown]
	v_lshl_add_u64 v[64:65], v[64:65], 3, v[54:55]
	v_and_or_b32 v80, v75, s0, v71
	global_store_dwordx2 v[64:65], v[4:5], off
	v_mad_u64_u32 v[64:65], s[2:3], s8, v80, 0
	v_mov_b32_e32 v66, v65
	v_mad_u64_u32 v[66:67], s[2:3], s9, v80, v[66:67]
	v_mov_b32_e32 v65, v66
	v_lshl_add_u64 v[64:65], v[64:65], 3, v[54:55]
	v_add_u32_e32 v67, 64, v80
	global_store_dwordx2 v[64:65], v[20:21], off
	v_mad_u64_u32 v[64:65], s[2:3], s8, v67, 0
	v_mov_b32_e32 v66, v65
	v_mad_u64_u32 v[66:67], s[2:3], s9, v67, v[66:67]
	v_mov_b32_e32 v65, v66
	v_lshl_add_u64 v[64:65], v[64:65], 3, v[54:55]
	v_add_u32_e32 v67, 0x80, v80
	global_store_dwordx2 v[64:65], v[34:35], off
	v_mad_u64_u32 v[64:65], s[2:3], s8, v67, 0
	v_mov_b32_e32 v66, v65
	v_mad_u64_u32 v[66:67], s[2:3], s9, v67, v[66:67]
	v_mov_b32_e32 v65, v66
	v_lshl_add_u64 v[64:65], v[64:65], 3, v[54:55]
	v_and_or_b32 v80, v74, s0, v72
	global_store_dwordx2 v[64:65], v[22:23], off
	v_mad_u64_u32 v[64:65], s[2:3], s8, v80, 0
	v_mov_b32_e32 v66, v65
	v_mad_u64_u32 v[66:67], s[2:3], s9, v80, v[66:67]
	v_mov_b32_e32 v65, v66
	v_lshl_add_u64 v[64:65], v[64:65], 3, v[54:55]
	v_add_u32_e32 v67, 64, v80
	global_store_dwordx2 v[64:65], v[28:29], off
	v_mad_u64_u32 v[64:65], s[2:3], s8, v67, 0
	v_mov_b32_e32 v66, v65
	v_mad_u64_u32 v[66:67], s[2:3], s9, v67, v[66:67]
	v_mov_b32_e32 v65, v66
	v_lshl_add_u64 v[64:65], v[64:65], 3, v[54:55]
	v_add_u32_e32 v67, 0x80, v80
	global_store_dwordx2 v[64:65], v[40:41], off
	v_mad_u64_u32 v[64:65], s[2:3], s8, v67, 0
	v_mov_b32_e32 v66, v65
	v_mad_u64_u32 v[66:67], s[2:3], s9, v67, v[66:67]
	v_mov_b32_e32 v65, v66
	;; [unrolled: 21-line block ×3, first 2 shown]
	v_lshl_add_u64 v[64:65], v[64:65], 3, v[54:55]
	s_and_b64 s[0:1], s[4:5], exec
	global_store_dwordx2 v[64:65], v[62:63], off
	s_cbranch_execz .LBB0_19
	s_branch .LBB0_22
.LBB0_18:
	s_mov_b64 s[0:1], 0
                                        ; implicit-def: $vgpr54_vgpr55
.LBB0_19:
	v_cmp_gt_u64_e32 vcc, s[10:11], v[50:51]
                                        ; implicit-def: $vgpr54_vgpr55
	s_and_saveexec_b64 s[2:3], vcc
	s_cbranch_execz .LBB0_21
; %bb.20:
	v_mad_u64_u32 v[50:51], s[10:11], s12, v48, 0
	v_mov_b32_e32 v54, v51
	v_mad_u64_u32 v[64:65], s[10:11], s8, v68, 0
	s_lshl_b64 s[6:7], s[6:7], 3
	v_mad_u64_u32 v[54:55], s[10:11], s13, v48, v[54:55]
	v_mov_b32_e32 v48, v65
	s_add_u32 s6, s14, s6
	v_mov_b32_e32 v51, v54
	v_mad_u64_u32 v[54:55], s[10:11], s9, v68, v[48:49]
	s_addc_u32 s7, s15, s7
	v_mov_b32_e32 v65, v54
	v_lshl_add_u64 v[54:55], v[50:51], 3, s[6:7]
	v_lshl_add_u64 v[50:51], v[64:65], 3, v[54:55]
	global_store_dwordx2 v[50:51], v[6:7], off
	v_mad_u64_u32 v[6:7], s[6:7], s8, v78, 0
	v_mov_b32_e32 v48, v7
	v_mad_u64_u32 v[50:51], s[6:7], s9, v78, v[48:49]
	v_mov_b32_e32 v7, v50
	v_lshl_add_u64 v[6:7], v[6:7], 3, v[54:55]
	global_store_dwordx2 v[6:7], v[18:19], off
	v_mad_u64_u32 v[6:7], s[6:7], s8, v77, 0
	v_mov_b32_e32 v18, v7
	v_mad_u64_u32 v[18:19], s[6:7], s9, v77, v[18:19]
	v_mov_b32_e32 v7, v18
	;; [unrolled: 6-line block ×5, first 2 shown]
	s_movk_i32 s10, 0x80
	v_lshl_add_u64 v[6:7], v[6:7], 3, v[54:55]
	v_and_or_b32 v12, v75, s10, v71
	global_store_dwordx2 v[6:7], v[4:5], off
	v_mad_u64_u32 v[4:5], s[6:7], s8, v12, 0
	v_mov_b32_e32 v6, v5
	v_mad_u64_u32 v[6:7], s[6:7], s9, v12, v[6:7]
	v_mov_b32_e32 v5, v6
	v_lshl_add_u64 v[4:5], v[4:5], 3, v[54:55]
	v_add_u32_e32 v7, 64, v12
	global_store_dwordx2 v[4:5], v[20:21], off
	v_mad_u64_u32 v[4:5], s[6:7], s8, v7, 0
	v_mov_b32_e32 v6, v5
	v_mad_u64_u32 v[6:7], s[6:7], s9, v7, v[6:7]
	v_mov_b32_e32 v5, v6
	v_lshl_add_u64 v[4:5], v[4:5], 3, v[54:55]
	v_add_u32_e32 v7, 0x80, v12
	global_store_dwordx2 v[4:5], v[34:35], off
	v_mad_u64_u32 v[4:5], s[6:7], s8, v7, 0
	v_mov_b32_e32 v6, v5
	v_mad_u64_u32 v[6:7], s[6:7], s9, v7, v[6:7]
	v_mov_b32_e32 v5, v6
	v_lshl_add_u64 v[4:5], v[4:5], 3, v[54:55]
	v_and_or_b32 v12, v74, s10, v72
	global_store_dwordx2 v[4:5], v[22:23], off
	v_mad_u64_u32 v[4:5], s[6:7], s8, v12, 0
	v_mov_b32_e32 v6, v5
	v_mad_u64_u32 v[6:7], s[6:7], s9, v12, v[6:7]
	v_mov_b32_e32 v5, v6
	v_lshl_add_u64 v[4:5], v[4:5], 3, v[54:55]
	v_add_u32_e32 v7, 64, v12
	global_store_dwordx2 v[4:5], v[28:29], off
	v_mad_u64_u32 v[4:5], s[6:7], s8, v7, 0
	v_mov_b32_e32 v6, v5
	v_mad_u64_u32 v[6:7], s[6:7], s9, v7, v[6:7]
	v_mov_b32_e32 v5, v6
	v_lshl_add_u64 v[4:5], v[4:5], 3, v[54:55]
	v_add_u32_e32 v7, 0x80, v12
	global_store_dwordx2 v[4:5], v[40:41], off
	v_mad_u64_u32 v[4:5], s[6:7], s8, v7, 0
	v_mov_b32_e32 v6, v5
	v_mad_u64_u32 v[6:7], s[6:7], s9, v7, v[6:7]
	v_mov_b32_e32 v5, v6
	;; [unrolled: 21-line block ×3, first 2 shown]
	s_andn2_b64 s[0:1], s[0:1], exec
	s_and_b64 s[4:5], s[4:5], exec
	v_lshl_add_u64 v[4:5], v[4:5], 3, v[54:55]
	s_or_b64 s[0:1], s[0:1], s[4:5]
	global_store_dwordx2 v[4:5], v[62:63], off
.LBB0_21:
	s_or_b64 exec, exec, s[2:3]
.LBB0_22:
	s_and_saveexec_b64 s[2:3], s[0:1]
	s_cbranch_execnz .LBB0_24
; %bb.23:
	s_endpgm
.LBB0_24:
	v_mov_b32_e32 v12, v1
	v_pk_mul_f32 v[12:13], v[12:13], v[8:9] op_sel_hi:[0,1]
	v_pk_fma_f32 v[14:15], v[0:1], v[8:9], v[12:13] op_sel:[0,0,1] op_sel_hi:[1,1,0] neg_lo:[0,0,1] neg_hi:[0,0,1]
	v_pk_fma_f32 v[0:1], v[0:1], v[8:9], v[12:13] op_sel:[0,0,1] op_sel_hi:[0,1,0]
	v_mov_b32_e32 v0, v3
	s_waitcnt vmcnt(7)
	v_mul_f32_e32 v4, v46, v58
	v_mov_b32_e32 v15, v1
	v_pk_mul_f32 v[0:1], v[0:1], v[10:11] op_sel_hi:[0,1]
	v_fma_f32 v6, -v47, v59, v4
	v_pk_mul_f32 v[4:5], v[46:47], v[58:59] op_sel:[1,0] op_sel_hi:[0,1]
	v_pk_fma_f32 v[8:9], v[2:3], v[10:11], v[0:1] op_sel:[0,0,1] op_sel_hi:[1,1,0] neg_lo:[0,0,1] neg_hi:[0,0,1]
	v_pk_fma_f32 v[0:1], v[2:3], v[10:11], v[0:1] op_sel:[0,0,1] op_sel_hi:[0,1,0]
	v_add_f32_e32 v5, v4, v5
	v_mov_b32_e32 v9, v1
	s_waitcnt vmcnt(6)
	v_mul_f32_e32 v4, v5, v45
	v_pk_add_f32 v[0:1], v[14:15], v[8:9]
	v_fma_f32 v4, v44, v6, -v4
	v_mul_f32_e32 v6, v6, v45
	v_fma_f32 v7, -0.5, v0, v52
	v_pk_add_f32 v[2:3], v[14:15], v[8:9] neg_lo:[0,1] neg_hi:[0,1]
	v_pk_add_f32 v[10:11], v[52:53], v[14:15]
	v_fmac_f32_e32 v6, v44, v5
	v_fmamk_f32 v5, v3, 0x3f5db3d7, v7
	v_fmac_f32_e32 v7, 0xbf5db3d7, v3
	v_pk_add_f32 v[8:9], v[10:11], v[8:9]
	v_fmac_f32_e32 v53, -0.5, v1
	v_pk_mul_f32 v[0:1], v[8:9], v[6:7] op_sel_hi:[1,0]
	v_fmamk_f32 v10, v2, 0xbf5db3d7, v53
	v_fmac_f32_e32 v53, 0x3f5db3d7, v2
	v_pk_fma_f32 v[2:3], v[8:9], v[4:5], v[0:1] op_sel:[0,0,1] op_sel_hi:[1,1,0] neg_lo:[0,0,1] neg_hi:[0,0,1]
	v_pk_fma_f32 v[0:1], v[8:9], v[4:5], v[0:1] op_sel:[0,0,1] op_sel_hi:[1,0,0]
	s_waitcnt vmcnt(4)
	v_mul_f32_e32 v3, v36, v39
	v_mul_f32_e32 v0, v37, v39
	v_fmac_f32_e32 v3, v37, v38
	v_fma_f32 v0, v36, v38, -v0
	s_waitcnt vmcnt(3)
	v_mul_f32_e32 v4, v3, v31
	v_fma_f32 v6, v30, v0, -v4
	v_mul_f32_e32 v0, v0, v31
	v_fmac_f32_e32 v0, v30, v3
	v_mul_f32_e32 v3, v10, v0
	v_fma_f32 v4, v5, v6, -v3
	s_waitcnt vmcnt(1)
	v_mul_f32_e32 v3, v24, v33
	v_mul_f32_e32 v5, v5, v0
	;; [unrolled: 1-line block ×3, first 2 shown]
	v_fmac_f32_e32 v3, v25, v32
	v_fmac_f32_e32 v5, v10, v6
	v_fma_f32 v0, v24, v32, -v0
	s_waitcnt vmcnt(0)
	v_mul_f32_e32 v6, v3, v27
	v_fma_f32 v8, v26, v0, -v6
	v_mul_f32_e32 v0, v0, v27
	v_fmac_f32_e32 v0, v26, v3
	v_mul_f32_e32 v3, v53, v0
	v_fma_f32 v6, v7, v8, -v3
	v_mul_f32_e32 v7, v7, v0
	v_fmac_f32_e32 v7, v53, v8
	v_mad_u64_u32 v[8:9], s[0:1], s8, v49, 0
	v_mov_b32_e32 v0, v9
	v_mad_u64_u32 v[10:11], s[0:1], s9, v49, v[0:1]
	v_mov_b32_e32 v9, v10
	v_lshl_add_u64 v[8:9], v[8:9], 3, v[54:55]
	v_mov_b32_e32 v3, v1
	global_store_dwordx2 v[8:9], v[2:3], off
	v_add_u32_e32 v3, 0x7c, v68
	v_mad_u64_u32 v[0:1], s[0:1], s8, v3, 0
	v_mov_b32_e32 v2, v1
	v_mad_u64_u32 v[2:3], s[0:1], s9, v3, v[2:3]
	v_mov_b32_e32 v1, v2
	v_lshl_add_u64 v[0:1], v[0:1], 3, v[54:55]
	v_add_u32_e32 v3, 0xbc, v68
	global_store_dwordx2 v[0:1], v[4:5], off
	v_mad_u64_u32 v[0:1], s[0:1], s8, v3, 0
	v_mov_b32_e32 v2, v1
	v_mad_u64_u32 v[2:3], s[0:1], s9, v3, v[2:3]
	v_mov_b32_e32 v1, v2
	v_lshl_add_u64 v[0:1], v[0:1], 3, v[54:55]
	global_store_dwordx2 v[0:1], v[6:7], off
	s_endpgm
	.section	.rodata,"a",@progbits
	.p2align	6, 0x0
	.amdhsa_kernel fft_rtc_fwd_len192_factors_4_4_2_2_3_wgs_252_tpt_12_dim3_sp_ip_CI_sbcc_twdbase8_3step_dirReg
		.amdhsa_group_segment_fixed_size 0
		.amdhsa_private_segment_fixed_size 0
		.amdhsa_kernarg_size 88
		.amdhsa_user_sgpr_count 2
		.amdhsa_user_sgpr_dispatch_ptr 0
		.amdhsa_user_sgpr_queue_ptr 0
		.amdhsa_user_sgpr_kernarg_segment_ptr 1
		.amdhsa_user_sgpr_dispatch_id 0
		.amdhsa_user_sgpr_kernarg_preload_length 0
		.amdhsa_user_sgpr_kernarg_preload_offset 0
		.amdhsa_user_sgpr_private_segment_size 0
		.amdhsa_uses_dynamic_stack 0
		.amdhsa_enable_private_segment 0
		.amdhsa_system_sgpr_workgroup_id_x 1
		.amdhsa_system_sgpr_workgroup_id_y 0
		.amdhsa_system_sgpr_workgroup_id_z 0
		.amdhsa_system_sgpr_workgroup_info 0
		.amdhsa_system_vgpr_workitem_id 0
		.amdhsa_next_free_vgpr 109
		.amdhsa_next_free_sgpr 27
		.amdhsa_accum_offset 112
		.amdhsa_reserve_vcc 1
		.amdhsa_float_round_mode_32 0
		.amdhsa_float_round_mode_16_64 0
		.amdhsa_float_denorm_mode_32 3
		.amdhsa_float_denorm_mode_16_64 3
		.amdhsa_dx10_clamp 1
		.amdhsa_ieee_mode 1
		.amdhsa_fp16_overflow 0
		.amdhsa_tg_split 0
		.amdhsa_exception_fp_ieee_invalid_op 0
		.amdhsa_exception_fp_denorm_src 0
		.amdhsa_exception_fp_ieee_div_zero 0
		.amdhsa_exception_fp_ieee_overflow 0
		.amdhsa_exception_fp_ieee_underflow 0
		.amdhsa_exception_fp_ieee_inexact 0
		.amdhsa_exception_int_div_zero 0
	.end_amdhsa_kernel
	.text
.Lfunc_end0:
	.size	fft_rtc_fwd_len192_factors_4_4_2_2_3_wgs_252_tpt_12_dim3_sp_ip_CI_sbcc_twdbase8_3step_dirReg, .Lfunc_end0-fft_rtc_fwd_len192_factors_4_4_2_2_3_wgs_252_tpt_12_dim3_sp_ip_CI_sbcc_twdbase8_3step_dirReg
                                        ; -- End function
	.section	.AMDGPU.csdata,"",@progbits
; Kernel info:
; codeLenInByte = 11216
; NumSgprs: 33
; NumVgprs: 109
; NumAgprs: 0
; TotalNumVgprs: 109
; ScratchSize: 0
; MemoryBound: 0
; FloatMode: 240
; IeeeMode: 1
; LDSByteSize: 0 bytes/workgroup (compile time only)
; SGPRBlocks: 4
; VGPRBlocks: 13
; NumSGPRsForWavesPerEU: 33
; NumVGPRsForWavesPerEU: 109
; AccumOffset: 112
; Occupancy: 4
; WaveLimiterHint : 1
; COMPUTE_PGM_RSRC2:SCRATCH_EN: 0
; COMPUTE_PGM_RSRC2:USER_SGPR: 2
; COMPUTE_PGM_RSRC2:TRAP_HANDLER: 0
; COMPUTE_PGM_RSRC2:TGID_X_EN: 1
; COMPUTE_PGM_RSRC2:TGID_Y_EN: 0
; COMPUTE_PGM_RSRC2:TGID_Z_EN: 0
; COMPUTE_PGM_RSRC2:TIDIG_COMP_CNT: 0
; COMPUTE_PGM_RSRC3_GFX90A:ACCUM_OFFSET: 27
; COMPUTE_PGM_RSRC3_GFX90A:TG_SPLIT: 0
	.text
	.p2alignl 6, 3212836864
	.fill 256, 4, 3212836864
	.type	__hip_cuid_ca7017c02aa4e42a,@object ; @__hip_cuid_ca7017c02aa4e42a
	.section	.bss,"aw",@nobits
	.globl	__hip_cuid_ca7017c02aa4e42a
__hip_cuid_ca7017c02aa4e42a:
	.byte	0                               ; 0x0
	.size	__hip_cuid_ca7017c02aa4e42a, 1

	.ident	"AMD clang version 19.0.0git (https://github.com/RadeonOpenCompute/llvm-project roc-6.4.0 25133 c7fe45cf4b819c5991fe208aaa96edf142730f1d)"
	.section	".note.GNU-stack","",@progbits
	.addrsig
	.addrsig_sym __hip_cuid_ca7017c02aa4e42a
	.amdgpu_metadata
---
amdhsa.kernels:
  - .agpr_count:     0
    .args:
      - .actual_access:  read_only
        .address_space:  global
        .offset:         0
        .size:           8
        .value_kind:     global_buffer
      - .address_space:  global
        .offset:         8
        .size:           8
        .value_kind:     global_buffer
      - .actual_access:  read_only
        .address_space:  global
        .offset:         16
        .size:           8
        .value_kind:     global_buffer
      - .actual_access:  read_only
        .address_space:  global
        .offset:         24
        .size:           8
        .value_kind:     global_buffer
      - .offset:         32
        .size:           8
        .value_kind:     by_value
      - .actual_access:  read_only
        .address_space:  global
        .offset:         40
        .size:           8
        .value_kind:     global_buffer
      - .actual_access:  read_only
        .address_space:  global
        .offset:         48
        .size:           8
        .value_kind:     global_buffer
      - .offset:         56
        .size:           4
        .value_kind:     by_value
      - .actual_access:  read_only
        .address_space:  global
        .offset:         64
        .size:           8
        .value_kind:     global_buffer
      - .actual_access:  read_only
        .address_space:  global
        .offset:         72
        .size:           8
        .value_kind:     global_buffer
      - .address_space:  global
        .offset:         80
        .size:           8
        .value_kind:     global_buffer
    .group_segment_fixed_size: 0
    .kernarg_segment_align: 8
    .kernarg_segment_size: 88
    .language:       OpenCL C
    .language_version:
      - 2
      - 0
    .max_flat_workgroup_size: 252
    .name:           fft_rtc_fwd_len192_factors_4_4_2_2_3_wgs_252_tpt_12_dim3_sp_ip_CI_sbcc_twdbase8_3step_dirReg
    .private_segment_fixed_size: 0
    .sgpr_count:     33
    .sgpr_spill_count: 0
    .symbol:         fft_rtc_fwd_len192_factors_4_4_2_2_3_wgs_252_tpt_12_dim3_sp_ip_CI_sbcc_twdbase8_3step_dirReg.kd
    .uniform_work_group_size: 1
    .uses_dynamic_stack: false
    .vgpr_count:     109
    .vgpr_spill_count: 0
    .wavefront_size: 64
amdhsa.target:   amdgcn-amd-amdhsa--gfx950
amdhsa.version:
  - 1
  - 2
...

	.end_amdgpu_metadata
